;; amdgpu-corpus repo=ROCm/rocFFT kind=compiled arch=gfx1030 opt=O3
	.text
	.amdgcn_target "amdgcn-amd-amdhsa--gfx1030"
	.amdhsa_code_object_version 6
	.protected	fft_rtc_back_len1734_factors_17_17_6_wgs_102_tpt_102_halfLds_dp_ip_CI_unitstride_sbrr_C2R_dirReg ; -- Begin function fft_rtc_back_len1734_factors_17_17_6_wgs_102_tpt_102_halfLds_dp_ip_CI_unitstride_sbrr_C2R_dirReg
	.globl	fft_rtc_back_len1734_factors_17_17_6_wgs_102_tpt_102_halfLds_dp_ip_CI_unitstride_sbrr_C2R_dirReg
	.p2align	8
	.type	fft_rtc_back_len1734_factors_17_17_6_wgs_102_tpt_102_halfLds_dp_ip_CI_unitstride_sbrr_C2R_dirReg,@function
fft_rtc_back_len1734_factors_17_17_6_wgs_102_tpt_102_halfLds_dp_ip_CI_unitstride_sbrr_C2R_dirReg: ; @fft_rtc_back_len1734_factors_17_17_6_wgs_102_tpt_102_halfLds_dp_ip_CI_unitstride_sbrr_C2R_dirReg
; %bb.0:
	s_clause 0x2
	s_load_dwordx4 s[8:11], s[4:5], 0x0
	s_load_dwordx2 s[2:3], s[4:5], 0x50
	s_load_dwordx2 s[12:13], s[4:5], 0x18
	v_mul_u32_u24_e32 v1, 0x283, v0
	v_mov_b32_e32 v3, 0
	v_add_nc_u32_sdwa v5, s6, v1 dst_sel:DWORD dst_unused:UNUSED_PAD src0_sel:DWORD src1_sel:WORD_1
	v_mov_b32_e32 v1, 0
	v_mov_b32_e32 v6, v3
	v_mov_b32_e32 v2, 0
	s_waitcnt lgkmcnt(0)
	v_cmp_lt_u64_e64 s0, s[10:11], 2
	s_and_b32 vcc_lo, exec_lo, s0
	s_cbranch_vccnz .LBB0_8
; %bb.1:
	s_load_dwordx2 s[0:1], s[4:5], 0x10
	v_mov_b32_e32 v1, 0
	s_add_u32 s6, s12, 8
	v_mov_b32_e32 v2, 0
	s_addc_u32 s7, s13, 0
	s_mov_b64 s[16:17], 1
	s_waitcnt lgkmcnt(0)
	s_add_u32 s14, s0, 8
	s_addc_u32 s15, s1, 0
.LBB0_2:                                ; =>This Inner Loop Header: Depth=1
	s_load_dwordx2 s[18:19], s[14:15], 0x0
                                        ; implicit-def: $vgpr7_vgpr8
	s_mov_b32 s0, exec_lo
	s_waitcnt lgkmcnt(0)
	v_or_b32_e32 v4, s19, v6
	v_cmpx_ne_u64_e32 0, v[3:4]
	s_xor_b32 s1, exec_lo, s0
	s_cbranch_execz .LBB0_4
; %bb.3:                                ;   in Loop: Header=BB0_2 Depth=1
	v_cvt_f32_u32_e32 v4, s18
	v_cvt_f32_u32_e32 v7, s19
	s_sub_u32 s0, 0, s18
	s_subb_u32 s20, 0, s19
	v_fmac_f32_e32 v4, 0x4f800000, v7
	v_rcp_f32_e32 v4, v4
	v_mul_f32_e32 v4, 0x5f7ffffc, v4
	v_mul_f32_e32 v7, 0x2f800000, v4
	v_trunc_f32_e32 v7, v7
	v_fmac_f32_e32 v4, 0xcf800000, v7
	v_cvt_u32_f32_e32 v7, v7
	v_cvt_u32_f32_e32 v4, v4
	v_mul_lo_u32 v8, s0, v7
	v_mul_hi_u32 v9, s0, v4
	v_mul_lo_u32 v10, s20, v4
	v_add_nc_u32_e32 v8, v9, v8
	v_mul_lo_u32 v9, s0, v4
	v_add_nc_u32_e32 v8, v8, v10
	v_mul_hi_u32 v10, v4, v9
	v_mul_lo_u32 v11, v4, v8
	v_mul_hi_u32 v12, v4, v8
	v_mul_hi_u32 v13, v7, v9
	v_mul_lo_u32 v9, v7, v9
	v_mul_hi_u32 v14, v7, v8
	v_mul_lo_u32 v8, v7, v8
	v_add_co_u32 v10, vcc_lo, v10, v11
	v_add_co_ci_u32_e32 v11, vcc_lo, 0, v12, vcc_lo
	v_add_co_u32 v9, vcc_lo, v10, v9
	v_add_co_ci_u32_e32 v9, vcc_lo, v11, v13, vcc_lo
	v_add_co_ci_u32_e32 v10, vcc_lo, 0, v14, vcc_lo
	v_add_co_u32 v8, vcc_lo, v9, v8
	v_add_co_ci_u32_e32 v9, vcc_lo, 0, v10, vcc_lo
	v_add_co_u32 v4, vcc_lo, v4, v8
	v_add_co_ci_u32_e32 v7, vcc_lo, v7, v9, vcc_lo
	v_mul_hi_u32 v8, s0, v4
	v_mul_lo_u32 v10, s20, v4
	v_mul_lo_u32 v9, s0, v7
	v_add_nc_u32_e32 v8, v8, v9
	v_mul_lo_u32 v9, s0, v4
	v_add_nc_u32_e32 v8, v8, v10
	v_mul_hi_u32 v10, v4, v9
	v_mul_lo_u32 v11, v4, v8
	v_mul_hi_u32 v12, v4, v8
	v_mul_hi_u32 v13, v7, v9
	v_mul_lo_u32 v9, v7, v9
	v_mul_hi_u32 v14, v7, v8
	v_mul_lo_u32 v8, v7, v8
	v_add_co_u32 v10, vcc_lo, v10, v11
	v_add_co_ci_u32_e32 v11, vcc_lo, 0, v12, vcc_lo
	v_add_co_u32 v9, vcc_lo, v10, v9
	v_add_co_ci_u32_e32 v9, vcc_lo, v11, v13, vcc_lo
	v_add_co_ci_u32_e32 v10, vcc_lo, 0, v14, vcc_lo
	v_add_co_u32 v8, vcc_lo, v9, v8
	v_add_co_ci_u32_e32 v9, vcc_lo, 0, v10, vcc_lo
	v_add_co_u32 v4, vcc_lo, v4, v8
	v_add_co_ci_u32_e32 v11, vcc_lo, v7, v9, vcc_lo
	v_mul_hi_u32 v13, v5, v4
	v_mad_u64_u32 v[9:10], null, v6, v4, 0
	v_mad_u64_u32 v[7:8], null, v5, v11, 0
	;; [unrolled: 1-line block ×3, first 2 shown]
	v_add_co_u32 v4, vcc_lo, v13, v7
	v_add_co_ci_u32_e32 v7, vcc_lo, 0, v8, vcc_lo
	v_add_co_u32 v4, vcc_lo, v4, v9
	v_add_co_ci_u32_e32 v4, vcc_lo, v7, v10, vcc_lo
	v_add_co_ci_u32_e32 v7, vcc_lo, 0, v12, vcc_lo
	v_add_co_u32 v4, vcc_lo, v4, v11
	v_add_co_ci_u32_e32 v9, vcc_lo, 0, v7, vcc_lo
	v_mul_lo_u32 v10, s19, v4
	v_mad_u64_u32 v[7:8], null, s18, v4, 0
	v_mul_lo_u32 v11, s18, v9
	v_sub_co_u32 v7, vcc_lo, v5, v7
	v_add3_u32 v8, v8, v11, v10
	v_sub_nc_u32_e32 v10, v6, v8
	v_subrev_co_ci_u32_e64 v10, s0, s19, v10, vcc_lo
	v_add_co_u32 v11, s0, v4, 2
	v_add_co_ci_u32_e64 v12, s0, 0, v9, s0
	v_sub_co_u32 v13, s0, v7, s18
	v_sub_co_ci_u32_e32 v8, vcc_lo, v6, v8, vcc_lo
	v_subrev_co_ci_u32_e64 v10, s0, 0, v10, s0
	v_cmp_le_u32_e32 vcc_lo, s18, v13
	v_cmp_eq_u32_e64 s0, s19, v8
	v_cndmask_b32_e64 v13, 0, -1, vcc_lo
	v_cmp_le_u32_e32 vcc_lo, s19, v10
	v_cndmask_b32_e64 v14, 0, -1, vcc_lo
	v_cmp_le_u32_e32 vcc_lo, s18, v7
	;; [unrolled: 2-line block ×3, first 2 shown]
	v_cndmask_b32_e64 v15, 0, -1, vcc_lo
	v_cmp_eq_u32_e32 vcc_lo, s19, v10
	v_cndmask_b32_e64 v7, v15, v7, s0
	v_cndmask_b32_e32 v10, v14, v13, vcc_lo
	v_add_co_u32 v13, vcc_lo, v4, 1
	v_add_co_ci_u32_e32 v14, vcc_lo, 0, v9, vcc_lo
	v_cmp_ne_u32_e32 vcc_lo, 0, v10
	v_cndmask_b32_e32 v8, v14, v12, vcc_lo
	v_cndmask_b32_e32 v10, v13, v11, vcc_lo
	v_cmp_ne_u32_e32 vcc_lo, 0, v7
	v_cndmask_b32_e32 v8, v9, v8, vcc_lo
	v_cndmask_b32_e32 v7, v4, v10, vcc_lo
.LBB0_4:                                ;   in Loop: Header=BB0_2 Depth=1
	s_andn2_saveexec_b32 s0, s1
	s_cbranch_execz .LBB0_6
; %bb.5:                                ;   in Loop: Header=BB0_2 Depth=1
	v_cvt_f32_u32_e32 v4, s18
	s_sub_i32 s1, 0, s18
	v_rcp_iflag_f32_e32 v4, v4
	v_mul_f32_e32 v4, 0x4f7ffffe, v4
	v_cvt_u32_f32_e32 v4, v4
	v_mul_lo_u32 v7, s1, v4
	v_mul_hi_u32 v7, v4, v7
	v_add_nc_u32_e32 v4, v4, v7
	v_mul_hi_u32 v4, v5, v4
	v_mul_lo_u32 v7, v4, s18
	v_add_nc_u32_e32 v8, 1, v4
	v_sub_nc_u32_e32 v7, v5, v7
	v_subrev_nc_u32_e32 v9, s18, v7
	v_cmp_le_u32_e32 vcc_lo, s18, v7
	v_cndmask_b32_e32 v7, v7, v9, vcc_lo
	v_cndmask_b32_e32 v4, v4, v8, vcc_lo
	v_cmp_le_u32_e32 vcc_lo, s18, v7
	v_add_nc_u32_e32 v8, 1, v4
	v_cndmask_b32_e32 v7, v4, v8, vcc_lo
	v_mov_b32_e32 v8, v3
.LBB0_6:                                ;   in Loop: Header=BB0_2 Depth=1
	s_or_b32 exec_lo, exec_lo, s0
	s_load_dwordx2 s[0:1], s[6:7], 0x0
	v_mul_lo_u32 v4, v8, s18
	v_mul_lo_u32 v11, v7, s19
	v_mad_u64_u32 v[9:10], null, v7, s18, 0
	s_add_u32 s16, s16, 1
	s_addc_u32 s17, s17, 0
	s_add_u32 s6, s6, 8
	s_addc_u32 s7, s7, 0
	;; [unrolled: 2-line block ×3, first 2 shown]
	v_add3_u32 v4, v10, v11, v4
	v_sub_co_u32 v5, vcc_lo, v5, v9
	v_sub_co_ci_u32_e32 v4, vcc_lo, v6, v4, vcc_lo
	s_waitcnt lgkmcnt(0)
	v_mul_lo_u32 v6, s1, v5
	v_mul_lo_u32 v4, s0, v4
	v_mad_u64_u32 v[1:2], null, s0, v5, v[1:2]
	v_cmp_ge_u64_e64 s0, s[16:17], s[10:11]
	s_and_b32 vcc_lo, exec_lo, s0
	v_add3_u32 v2, v6, v2, v4
	s_cbranch_vccnz .LBB0_9
; %bb.7:                                ;   in Loop: Header=BB0_2 Depth=1
	v_mov_b32_e32 v5, v7
	v_mov_b32_e32 v6, v8
	s_branch .LBB0_2
.LBB0_8:
	v_mov_b32_e32 v8, v6
	v_mov_b32_e32 v7, v5
.LBB0_9:
	s_lshl_b64 s[0:1], s[10:11], 3
	v_mul_hi_u32 v5, 0x2828283, v0
	s_add_u32 s0, s12, s0
	s_addc_u32 s1, s13, s1
	s_load_dwordx2 s[0:1], s[0:1], 0x0
	s_load_dwordx2 s[4:5], s[4:5], 0x20
	s_waitcnt lgkmcnt(0)
	v_mul_lo_u32 v3, s0, v8
	v_mul_lo_u32 v4, s1, v7
	v_mad_u64_u32 v[1:2], null, s0, v7, v[1:2]
	v_cmp_gt_u64_e32 vcc_lo, s[4:5], v[7:8]
	v_add3_u32 v2, v4, v2, v3
	v_mul_u32_u24_e32 v3, 0x66, v5
	v_lshlrev_b64 v[74:75], 4, v[1:2]
	v_sub_nc_u32_e32 v72, v0, v3
	s_and_saveexec_b32 s1, vcc_lo
	s_cbranch_execz .LBB0_13
; %bb.10:
	v_mov_b32_e32 v73, 0
	v_add_co_u32 v0, s0, s2, v74
	v_add_co_ci_u32_e64 v1, s0, s3, v75, s0
	v_lshlrev_b64 v[2:3], 4, v[72:73]
	v_lshl_add_u32 v70, v72, 4, 0
	s_mov_b32 s4, exec_lo
	v_add_co_u32 v18, s0, v0, v2
	v_add_co_ci_u32_e64 v19, s0, v1, v3, s0
	v_add_co_u32 v10, s0, 0x800, v18
	v_add_co_ci_u32_e64 v11, s0, 0, v19, s0
	;; [unrolled: 2-line block ×13, first 2 shown]
	s_clause 0x10
	global_load_dwordx4 v[2:5], v[18:19], off
	global_load_dwordx4 v[6:9], v[18:19], off offset:1632
	global_load_dwordx4 v[10:13], v[10:11], off offset:1216
	global_load_dwordx4 v[14:17], v[14:15], off offset:800
	global_load_dwordx4 v[18:21], v[22:23], off offset:384
	global_load_dwordx4 v[22:25], v[22:23], off offset:2016
	global_load_dwordx4 v[26:29], v[26:27], off offset:1600
	global_load_dwordx4 v[30:33], v[30:31], off offset:1184
	global_load_dwordx4 v[34:37], v[34:35], off offset:768
	global_load_dwordx4 v[38:41], v[42:43], off offset:352
	global_load_dwordx4 v[42:45], v[42:43], off offset:1984
	global_load_dwordx4 v[46:49], v[46:47], off offset:1568
	global_load_dwordx4 v[50:53], v[50:51], off offset:1152
	global_load_dwordx4 v[54:57], v[54:55], off offset:736
	global_load_dwordx4 v[58:61], v[62:63], off offset:320
	global_load_dwordx4 v[62:65], v[62:63], off offset:1952
	global_load_dwordx4 v[66:69], v[66:67], off offset:1536
	s_waitcnt vmcnt(16)
	ds_write_b128 v70, v[2:5]
	s_waitcnt vmcnt(15)
	ds_write_b128 v70, v[6:9] offset:1632
	s_waitcnt vmcnt(14)
	ds_write_b128 v70, v[10:13] offset:3264
	;; [unrolled: 2-line block ×16, first 2 shown]
	v_cmpx_eq_u32_e32 0x65, v72
	s_cbranch_execz .LBB0_12
; %bb.11:
	v_add_co_u32 v0, s0, 0x6800, v0
	v_add_co_ci_u32_e64 v1, s0, 0, v1, s0
	v_mov_b32_e32 v72, 0x65
	global_load_dwordx4 v[0:3], v[0:1], off offset:1120
	s_waitcnt vmcnt(0)
	ds_write_b128 v73, v[0:3] offset:27744
.LBB0_12:
	s_or_b32 exec_lo, exec_lo, s4
.LBB0_13:
	s_or_b32 exec_lo, exec_lo, s1
	v_lshlrev_b32_e32 v0, 4, v72
	s_waitcnt lgkmcnt(0)
	s_barrier
	buffer_gl0_inv
	s_add_u32 s1, s8, 0x6b50
	v_add_nc_u32_e32 v126, 0, v0
	v_sub_nc_u32_e32 v10, 0, v0
	s_addc_u32 s4, s9, 0
	s_mov_b32 s5, exec_lo
                                        ; implicit-def: $vgpr4_vgpr5
	ds_read_b64 v[6:7], v126
	ds_read_b64 v[8:9], v10 offset:27744
	s_waitcnt lgkmcnt(0)
	v_add_f64 v[0:1], v[6:7], v[8:9]
	v_add_f64 v[2:3], v[6:7], -v[8:9]
	v_cmpx_ne_u32_e32 0, v72
	s_xor_b32 s5, exec_lo, s5
	s_cbranch_execz .LBB0_15
; %bb.14:
	v_mov_b32_e32 v73, 0
	v_add_f64 v[13:14], v[6:7], v[8:9]
	v_add_f64 v[15:16], v[6:7], -v[8:9]
	v_lshlrev_b64 v[0:1], 4, v[72:73]
	v_add_co_u32 v0, s0, s1, v0
	v_add_co_ci_u32_e64 v1, s0, s4, v1, s0
	global_load_dwordx4 v[2:5], v[0:1], off
	ds_read_b64 v[0:1], v10 offset:27752
	ds_read_b64 v[11:12], v126 offset:8
	s_waitcnt lgkmcnt(0)
	v_add_f64 v[6:7], v[0:1], v[11:12]
	v_add_f64 v[0:1], v[11:12], -v[0:1]
	s_waitcnt vmcnt(0)
	v_fma_f64 v[8:9], v[15:16], v[4:5], v[13:14]
	v_fma_f64 v[11:12], -v[15:16], v[4:5], v[13:14]
	v_fma_f64 v[13:14], v[6:7], v[4:5], -v[0:1]
	v_fma_f64 v[4:5], v[6:7], v[4:5], v[0:1]
	v_fma_f64 v[0:1], -v[6:7], v[2:3], v[8:9]
	v_fma_f64 v[6:7], v[6:7], v[2:3], v[11:12]
	v_fma_f64 v[8:9], v[15:16], v[2:3], v[13:14]
	;; [unrolled: 1-line block ×3, first 2 shown]
	v_mov_b32_e32 v4, v72
	v_mov_b32_e32 v5, v73
	ds_write_b128 v10, v[6:9] offset:27744
.LBB0_15:
	s_andn2_saveexec_b32 s0, s5
	s_cbranch_execz .LBB0_17
; %bb.16:
	v_mov_b32_e32 v8, 0
	ds_read_b128 v[4:7], v8 offset:13872
	s_waitcnt lgkmcnt(0)
	v_add_f64 v[11:12], v[4:5], v[4:5]
	v_mul_f64 v[13:14], v[6:7], -2.0
	v_mov_b32_e32 v4, 0
	v_mov_b32_e32 v5, 0
	ds_write_b128 v8, v[11:14] offset:13872
.LBB0_17:
	s_or_b32 exec_lo, exec_lo, s0
	v_lshlrev_b64 v[4:5], 4, v[4:5]
	ds_write_b128 v126, v[0:3]
	v_add_co_u32 v4, s0, s1, v4
	v_add_co_ci_u32_e64 v5, s0, s4, v5, s0
	s_mov_b32 s1, exec_lo
	v_add_co_u32 v11, s0, 0x800, v4
	global_load_dwordx4 v[6:9], v[4:5], off offset:1632
	v_add_co_ci_u32_e64 v12, s0, 0, v5, s0
	v_add_co_u32 v15, s0, 0x1000, v4
	v_add_co_ci_u32_e64 v16, s0, 0, v5, s0
	global_load_dwordx4 v[11:14], v[11:12], off offset:1216
	v_add_co_u32 v27, s0, 0x1800, v4
	global_load_dwordx4 v[15:18], v[15:16], off offset:800
	v_add_co_ci_u32_e64 v28, s0, 0, v5, s0
	ds_read_b128 v[0:3], v126 offset:1632
	ds_read_b128 v[19:22], v10 offset:26112
	global_load_dwordx4 v[23:26], v[27:28], off offset:384
	s_waitcnt lgkmcnt(0)
	v_add_f64 v[29:30], v[0:1], v[19:20]
	v_add_f64 v[31:32], v[21:22], v[2:3]
	v_add_f64 v[33:34], v[0:1], -v[19:20]
	v_add_f64 v[0:1], v[2:3], -v[21:22]
	s_waitcnt vmcnt(3)
	v_fma_f64 v[2:3], v[33:34], v[8:9], v[29:30]
	v_fma_f64 v[19:20], v[31:32], v[8:9], v[0:1]
	v_fma_f64 v[21:22], -v[33:34], v[8:9], v[29:30]
	v_fma_f64 v[8:9], v[31:32], v[8:9], -v[0:1]
	v_fma_f64 v[0:1], -v[31:32], v[6:7], v[2:3]
	v_fma_f64 v[2:3], v[33:34], v[6:7], v[19:20]
	v_fma_f64 v[19:20], v[31:32], v[6:7], v[21:22]
	v_fma_f64 v[21:22], v[33:34], v[6:7], v[8:9]
	ds_write_b128 v126, v[0:3] offset:1632
	ds_write_b128 v10, v[19:22] offset:26112
	ds_read_b128 v[0:3], v126 offset:3264
	ds_read_b128 v[6:9], v10 offset:24480
	global_load_dwordx4 v[19:22], v[27:28], off offset:2016
	s_waitcnt lgkmcnt(0)
	v_add_f64 v[27:28], v[0:1], v[6:7]
	v_add_f64 v[29:30], v[8:9], v[2:3]
	v_add_f64 v[31:32], v[0:1], -v[6:7]
	v_add_f64 v[0:1], v[2:3], -v[8:9]
	s_waitcnt vmcnt(3)
	v_fma_f64 v[2:3], v[31:32], v[13:14], v[27:28]
	v_fma_f64 v[6:7], v[29:30], v[13:14], v[0:1]
	v_fma_f64 v[8:9], -v[31:32], v[13:14], v[27:28]
	v_fma_f64 v[13:14], v[29:30], v[13:14], -v[0:1]
	v_fma_f64 v[0:1], -v[29:30], v[11:12], v[2:3]
	v_fma_f64 v[2:3], v[31:32], v[11:12], v[6:7]
	v_fma_f64 v[6:7], v[29:30], v[11:12], v[8:9]
	;; [unrolled: 1-line block ×3, first 2 shown]
	v_add_co_u32 v11, s0, 0x2000, v4
	v_add_co_ci_u32_e64 v12, s0, 0, v5, s0
	ds_write_b128 v126, v[0:3] offset:3264
	ds_write_b128 v10, v[6:9] offset:24480
	ds_read_b128 v[0:3], v126 offset:4896
	ds_read_b128 v[6:9], v10 offset:22848
	global_load_dwordx4 v[11:14], v[11:12], off offset:1600
	s_waitcnt lgkmcnt(0)
	v_add_f64 v[27:28], v[0:1], v[6:7]
	v_add_f64 v[29:30], v[8:9], v[2:3]
	v_add_f64 v[31:32], v[0:1], -v[6:7]
	v_add_f64 v[0:1], v[2:3], -v[8:9]
	s_waitcnt vmcnt(3)
	v_fma_f64 v[2:3], v[31:32], v[17:18], v[27:28]
	v_fma_f64 v[6:7], v[29:30], v[17:18], v[0:1]
	v_fma_f64 v[8:9], -v[31:32], v[17:18], v[27:28]
	v_fma_f64 v[17:18], v[29:30], v[17:18], -v[0:1]
	v_fma_f64 v[0:1], -v[29:30], v[15:16], v[2:3]
	v_fma_f64 v[2:3], v[31:32], v[15:16], v[6:7]
	v_fma_f64 v[6:7], v[29:30], v[15:16], v[8:9]
	;; [unrolled: 1-line block ×3, first 2 shown]
	v_add_co_u32 v15, s0, 0x2800, v4
	v_add_co_ci_u32_e64 v16, s0, 0, v5, s0
	ds_write_b128 v126, v[0:3] offset:4896
	ds_write_b128 v10, v[6:9] offset:22848
	ds_read_b128 v[0:3], v126 offset:6528
	ds_read_b128 v[6:9], v10 offset:21216
	global_load_dwordx4 v[15:18], v[15:16], off offset:1184
	s_waitcnt lgkmcnt(0)
	v_add_f64 v[27:28], v[0:1], v[6:7]
	v_add_f64 v[29:30], v[8:9], v[2:3]
	v_add_f64 v[31:32], v[0:1], -v[6:7]
	v_add_f64 v[0:1], v[2:3], -v[8:9]
	s_waitcnt vmcnt(3)
	v_fma_f64 v[2:3], v[31:32], v[25:26], v[27:28]
	v_fma_f64 v[6:7], v[29:30], v[25:26], v[0:1]
	v_fma_f64 v[8:9], -v[31:32], v[25:26], v[27:28]
	v_fma_f64 v[25:26], v[29:30], v[25:26], -v[0:1]
	v_fma_f64 v[0:1], -v[29:30], v[23:24], v[2:3]
	v_fma_f64 v[2:3], v[31:32], v[23:24], v[6:7]
	v_fma_f64 v[6:7], v[29:30], v[23:24], v[8:9]
	v_fma_f64 v[8:9], v[31:32], v[23:24], v[25:26]
	ds_write_b128 v126, v[0:3] offset:6528
	ds_write_b128 v10, v[6:9] offset:21216
	ds_read_b128 v[0:3], v126 offset:8160
	ds_read_b128 v[6:9], v10 offset:19584
	s_waitcnt lgkmcnt(0)
	v_add_f64 v[23:24], v[0:1], v[6:7]
	v_add_f64 v[25:26], v[8:9], v[2:3]
	v_add_f64 v[27:28], v[0:1], -v[6:7]
	v_add_f64 v[0:1], v[2:3], -v[8:9]
	s_waitcnt vmcnt(2)
	v_fma_f64 v[2:3], v[27:28], v[21:22], v[23:24]
	v_fma_f64 v[6:7], v[25:26], v[21:22], v[0:1]
	v_fma_f64 v[8:9], -v[27:28], v[21:22], v[23:24]
	v_fma_f64 v[21:22], v[25:26], v[21:22], -v[0:1]
	v_fma_f64 v[0:1], -v[25:26], v[19:20], v[2:3]
	v_fma_f64 v[2:3], v[27:28], v[19:20], v[6:7]
	v_fma_f64 v[6:7], v[25:26], v[19:20], v[8:9]
	v_fma_f64 v[8:9], v[27:28], v[19:20], v[21:22]
	ds_write_b128 v126, v[0:3] offset:8160
	ds_write_b128 v10, v[6:9] offset:19584
	ds_read_b128 v[0:3], v126 offset:9792
	ds_read_b128 v[6:9], v10 offset:17952
	s_waitcnt lgkmcnt(0)
	v_add_f64 v[19:20], v[0:1], v[6:7]
	v_add_f64 v[21:22], v[8:9], v[2:3]
	v_add_f64 v[23:24], v[0:1], -v[6:7]
	v_add_f64 v[0:1], v[2:3], -v[8:9]
	s_waitcnt vmcnt(1)
	v_fma_f64 v[2:3], v[23:24], v[13:14], v[19:20]
	v_fma_f64 v[6:7], v[21:22], v[13:14], v[0:1]
	v_fma_f64 v[8:9], -v[23:24], v[13:14], v[19:20]
	v_fma_f64 v[13:14], v[21:22], v[13:14], -v[0:1]
	v_fma_f64 v[0:1], -v[21:22], v[11:12], v[2:3]
	v_fma_f64 v[2:3], v[23:24], v[11:12], v[6:7]
	v_fma_f64 v[6:7], v[21:22], v[11:12], v[8:9]
	v_fma_f64 v[8:9], v[23:24], v[11:12], v[13:14]
	ds_write_b128 v126, v[0:3] offset:9792
	ds_write_b128 v10, v[6:9] offset:17952
	ds_read_b128 v[0:3], v126 offset:11424
	ds_read_b128 v[6:9], v10 offset:16320
	s_waitcnt lgkmcnt(0)
	v_add_f64 v[11:12], v[0:1], v[6:7]
	v_add_f64 v[13:14], v[8:9], v[2:3]
	v_add_f64 v[19:20], v[0:1], -v[6:7]
	v_add_f64 v[0:1], v[2:3], -v[8:9]
	s_waitcnt vmcnt(0)
	v_fma_f64 v[2:3], v[19:20], v[17:18], v[11:12]
	v_fma_f64 v[6:7], v[13:14], v[17:18], v[0:1]
	v_fma_f64 v[8:9], -v[19:20], v[17:18], v[11:12]
	v_fma_f64 v[11:12], v[13:14], v[17:18], -v[0:1]
	v_fma_f64 v[0:1], -v[13:14], v[15:16], v[2:3]
	v_fma_f64 v[2:3], v[19:20], v[15:16], v[6:7]
	v_fma_f64 v[6:7], v[13:14], v[15:16], v[8:9]
	;; [unrolled: 1-line block ×3, first 2 shown]
	ds_write_b128 v126, v[0:3] offset:11424
	ds_write_b128 v10, v[6:9] offset:16320
	v_cmpx_gt_u32_e32 51, v72
	s_cbranch_execz .LBB0_19
; %bb.18:
	v_add_co_u32 v0, s0, 0x3000, v4
	v_add_co_ci_u32_e64 v1, s0, 0, v5, s0
	global_load_dwordx4 v[0:3], v[0:1], off offset:768
	ds_read_b128 v[4:7], v126 offset:13056
	ds_read_b128 v[11:14], v10 offset:14688
	s_waitcnt lgkmcnt(0)
	v_add_f64 v[8:9], v[4:5], v[11:12]
	v_add_f64 v[15:16], v[13:14], v[6:7]
	v_add_f64 v[11:12], v[4:5], -v[11:12]
	v_add_f64 v[4:5], v[6:7], -v[13:14]
	s_waitcnt vmcnt(0)
	v_fma_f64 v[6:7], v[11:12], v[2:3], v[8:9]
	v_fma_f64 v[13:14], v[15:16], v[2:3], v[4:5]
	v_fma_f64 v[8:9], -v[11:12], v[2:3], v[8:9]
	v_fma_f64 v[17:18], v[15:16], v[2:3], -v[4:5]
	v_fma_f64 v[2:3], -v[15:16], v[0:1], v[6:7]
	v_fma_f64 v[4:5], v[11:12], v[0:1], v[13:14]
	v_fma_f64 v[6:7], v[15:16], v[0:1], v[8:9]
	;; [unrolled: 1-line block ×3, first 2 shown]
	ds_write_b128 v126, v[2:5] offset:13056
	ds_write_b128 v10, v[6:9] offset:14688
.LBB0_19:
	s_or_b32 exec_lo, exec_lo, s1
	s_waitcnt lgkmcnt(0)
	s_barrier
	buffer_gl0_inv
	s_barrier
	buffer_gl0_inv
	ds_read_b128 v[0:3], v126
	ds_read_b128 v[20:23], v126 offset:1632
	ds_read_b128 v[28:31], v126 offset:3264
	;; [unrolled: 1-line block ×16, first 2 shown]
	s_mov_b32 s38, 0x5d8e7cdc
	s_mov_b32 s39, 0xbfd71e95
	;; [unrolled: 1-line block ×10, first 2 shown]
	s_waitcnt lgkmcnt(15)
	v_add_f64 v[68:69], v[0:1], v[20:21]
	v_add_f64 v[70:71], v[2:3], v[22:23]
	s_mov_b32 s41, 0x3fedd6d0
	s_mov_b32 s23, 0xbfe58eea
	;; [unrolled: 1-line block ×3, first 2 shown]
	s_waitcnt lgkmcnt(4)
	v_add_f64 v[100:101], v[38:39], v[62:63]
	v_add_f64 v[102:103], v[38:39], -v[62:63]
	v_add_f64 v[92:93], v[26:27], v[66:67]
	v_add_f64 v[88:89], v[24:25], -v[64:65]
	s_waitcnt lgkmcnt(0)
	v_add_f64 v[118:119], v[22:23], -v[46:47]
	v_add_f64 v[96:97], v[26:27], -v[66:67]
	v_add_f64 v[78:79], v[16:17], v[4:5]
	v_add_f64 v[84:85], v[18:19], v[6:7]
	v_add_f64 v[90:91], v[18:19], -v[6:7]
	v_add_f64 v[22:23], v[22:23], v[46:47]
	v_add_f64 v[98:99], v[36:37], v[60:61]
	v_add_f64 v[94:95], v[36:37], -v[60:61]
	s_mov_b32 s7, 0xbfefdd0d
	s_mov_b32 s1, 0xbfeec746
	;; [unrolled: 1-line block ×5, first 2 shown]
	v_add_f64 v[68:69], v[68:69], v[28:29]
	v_add_f64 v[70:71], v[70:71], v[30:31]
	;; [unrolled: 1-line block ×3, first 2 shown]
	v_add_f64 v[80:81], v[14:15], -v[10:11]
	v_add_f64 v[110:111], v[34:35], v[54:55]
	v_add_f64 v[112:113], v[34:35], -v[54:55]
	s_mov_b32 s18, 0x75d4884
	s_mov_b32 s10, 0x2b2883cd
	;; [unrolled: 1-line block ×3, first 2 shown]
	v_mul_f64 v[120:121], v[118:119], s[38:39]
	v_mul_f64 v[124:125], v[118:119], s[22:23]
	;; [unrolled: 1-line block ×9, first 2 shown]
	s_mov_b32 s14, 0xc61f0d01
	s_mov_b32 s36, 0x6ed5f1bb
	;; [unrolled: 1-line block ×4, first 2 shown]
	v_add_f64 v[82:83], v[68:69], v[32:33]
	v_add_f64 v[86:87], v[70:71], v[34:35]
	;; [unrolled: 1-line block ×3, first 2 shown]
	v_add_f64 v[70:71], v[12:13], -v[8:9]
	v_add_f64 v[34:35], v[28:29], v[48:49]
	s_mov_b32 s19, 0x3fe7a5f6
	s_mov_b32 s11, 0x3fdc86fa
	;; [unrolled: 1-line block ×9, first 2 shown]
	v_add_f64 v[106:107], v[42:43], v[58:59]
	v_add_f64 v[108:109], v[32:33], v[52:53]
	v_add_f64 v[28:29], v[28:29], -v[48:49]
	v_mul_f64 v[137:138], v[22:23], s[18:19]
	v_mul_f64 v[149:150], v[112:113], s[12:13]
	s_mov_b32 s21, 0x3fe58eea
	s_mov_b32 s20, s22
	v_add_f64 v[104:105], v[40:41], v[56:57]
	v_add_f64 v[114:115], v[82:83], v[40:41]
	;; [unrolled: 1-line block ×4, first 2 shown]
	v_add_f64 v[82:83], v[16:17], -v[4:5]
	v_add_f64 v[42:43], v[42:43], -v[58:59]
	;; [unrolled: 1-line block ×3, first 2 shown]
	v_mul_f64 v[139:140], v[22:23], s[10:11]
	v_mul_f64 v[141:142], v[22:23], s[4:5]
	;; [unrolled: 1-line block ×5, first 2 shown]
	s_mov_b32 s31, 0x3feca52d
	s_mov_b32 s25, 0x3fefdd0d
	;; [unrolled: 1-line block ×7, first 2 shown]
	v_fma_f64 v[237:238], v[108:109], s[10:11], v[149:150]
	s_mov_b32 s24, s6
	s_mov_b32 s28, s0
	;; [unrolled: 1-line block ×3, first 2 shown]
	v_add_f64 v[114:115], v[114:115], v[36:37]
	v_add_f64 v[38:39], v[116:117], v[38:39]
	;; [unrolled: 1-line block ×3, first 2 shown]
	v_add_f64 v[30:31], v[30:31], -v[50:51]
	v_add_f64 v[116:117], v[20:21], v[44:45]
	v_add_f64 v[20:21], v[20:21], -v[44:45]
	v_mul_f64 v[153:154], v[42:43], s[6:7]
	s_mov_b32 s52, s44
	s_mov_b32 s42, s26
	v_add_f64 v[40:41], v[40:41], -v[56:57]
	v_mul_f64 v[155:156], v[106:107], s[4:5]
	v_mul_f64 v[157:158], v[102:103], s[0:1]
	;; [unrolled: 1-line block ×4, first 2 shown]
	v_fma_f64 v[149:150], v[108:109], s[10:11], -v[149:150]
	v_mul_f64 v[159:160], v[100:101], s[14:15]
	v_mul_f64 v[161:162], v[96:97], s[16:17]
	;; [unrolled: 1-line block ×7, first 2 shown]
	v_add_f64 v[24:25], v[114:115], v[24:25]
	v_add_f64 v[26:27], v[38:39], v[26:27]
	v_mul_f64 v[147:148], v[36:37], s[18:19]
	v_mul_f64 v[114:115], v[30:31], s[22:23]
	v_fma_f64 v[205:206], v[116:117], s[40:41], v[120:121]
	v_fma_f64 v[215:216], v[20:21], s[48:49], v[122:123]
	;; [unrolled: 1-line block ×3, first 2 shown]
	v_fma_f64 v[129:130], v[116:117], s[4:5], -v[129:130]
	v_fma_f64 v[219:220], v[116:117], s[14:15], v[131:132]
	v_fma_f64 v[131:132], v[116:117], s[14:15], -v[131:132]
	v_fma_f64 v[221:222], v[116:117], s[36:37], v[133:134]
	v_fma_f64 v[133:134], v[116:117], s[36:37], -v[133:134]
	v_fma_f64 v[223:224], v[116:117], s[50:51], v[135:136]
	v_fma_f64 v[135:136], v[116:117], s[50:51], -v[135:136]
	v_fma_f64 v[227:228], v[116:117], s[34:35], v[118:119]
	v_mul_f64 v[38:39], v[22:23], s[50:51]
	v_mul_f64 v[22:23], v[22:23], s[34:35]
	;; [unrolled: 1-line block ×4, first 2 shown]
	v_fma_f64 v[231:232], v[20:21], s[28:29], v[143:144]
	v_fma_f64 v[143:144], v[20:21], s[0:1], v[143:144]
	;; [unrolled: 1-line block ×3, first 2 shown]
	v_add_f64 v[16:17], v[24:25], v[16:17]
	v_add_f64 v[18:19], v[26:27], v[18:19]
	v_fma_f64 v[229:230], v[28:29], s[20:21], v[147:148]
	v_fma_f64 v[225:226], v[34:35], s[18:19], v[114:115]
	v_add_f64 v[205:206], v[0:1], v[205:206]
	v_add_f64 v[215:216], v[2:3], v[215:216]
	v_fma_f64 v[114:115], v[34:35], s[18:19], -v[114:115]
	v_fma_f64 v[147:148], v[28:29], s[22:23], v[147:148]
	v_fma_f64 v[145:146], v[20:21], s[16:17], v[145:146]
	;; [unrolled: 1-line block ×3, first 2 shown]
	v_mul_f64 v[24:25], v[42:43], s[26:27]
	v_mul_f64 v[26:27], v[106:107], s[34:35]
	;; [unrolled: 1-line block ×4, first 2 shown]
	v_fma_f64 v[153:154], v[104:105], s[4:5], -v[153:154]
	v_fma_f64 v[235:236], v[20:21], s[52:53], v[38:39]
	v_fma_f64 v[38:39], v[20:21], s[44:45], v[38:39]
	v_mul_f64 v[199:200], v[110:111], s[34:35]
	v_fma_f64 v[241:242], v[94:95], s[28:29], v[159:160]
	v_fma_f64 v[243:244], v[86:87], s[36:37], v[161:162]
	v_mul_f64 v[167:168], v[84:85], s[50:51]
	v_mul_f64 v[169:170], v[80:81], s[26:27]
	v_add_f64 v[12:13], v[16:17], v[12:13]
	v_add_f64 v[14:15], v[18:19], v[14:15]
	v_fma_f64 v[16:17], v[116:117], s[40:41], -v[120:121]
	v_fma_f64 v[18:19], v[116:117], s[18:19], v[124:125]
	v_fma_f64 v[120:121], v[116:117], s[18:19], -v[124:125]
	v_fma_f64 v[124:125], v[116:117], s[10:11], v[127:128]
	v_fma_f64 v[127:128], v[116:117], s[10:11], -v[127:128]
	v_fma_f64 v[116:117], v[116:117], s[34:35], -v[118:119]
	v_fma_f64 v[118:119], v[20:21], s[38:39], v[122:123]
	v_fma_f64 v[122:123], v[20:21], s[20:21], v[137:138]
	v_add_f64 v[205:206], v[225:226], v[205:206]
	v_fma_f64 v[225:226], v[20:21], s[42:43], v[22:23]
	v_add_f64 v[215:216], v[229:230], v[215:216]
	v_mul_f64 v[185:186], v[96:97], s[28:29]
	v_mul_f64 v[187:188], v[92:93], s[14:15]
	;; [unrolled: 1-line block ×4, first 2 shown]
	v_fma_f64 v[245:246], v[88:89], s[46:47], v[163:164]
	v_fma_f64 v[247:248], v[78:79], s[50:51], v[165:166]
	;; [unrolled: 1-line block ×3, first 2 shown]
	v_fma_f64 v[161:162], v[86:87], s[36:37], -v[161:162]
	v_fma_f64 v[253:254], v[104:105], s[34:35], -v[24:25]
	v_add_f64 v[8:9], v[12:13], v[8:9]
	v_add_f64 v[10:11], v[14:15], v[10:11]
	;; [unrolled: 1-line block ×3, first 2 shown]
	v_fma_f64 v[12:13], v[20:21], s[22:23], v[137:138]
	v_fma_f64 v[14:15], v[20:21], s[30:31], v[139:140]
	;; [unrolled: 1-line block ×5, first 2 shown]
	v_add_f64 v[118:119], v[2:3], v[118:119]
	v_fma_f64 v[20:21], v[20:21], s[26:27], v[22:23]
	v_fma_f64 v[22:23], v[32:33], s[30:31], v[151:152]
	v_add_f64 v[205:206], v[237:238], v[205:206]
	v_fma_f64 v[237:238], v[28:29], s[24:25], v[175:176]
	v_fma_f64 v[151:152], v[32:33], s[12:13], v[151:152]
	v_add_f64 v[18:19], v[0:1], v[18:19]
	v_add_f64 v[122:123], v[2:3], v[122:123]
	v_fma_f64 v[175:176], v[28:29], s[6:7], v[175:176]
	v_add_f64 v[120:121], v[0:1], v[120:121]
	v_add_f64 v[124:125], v[0:1], v[124:125]
	v_mul_f64 v[171:172], v[76:77], s[34:35]
	v_mul_f64 v[189:190], v[90:91], s[30:31]
	;; [unrolled: 1-line block ×3, first 2 shown]
	v_add_f64 v[4:5], v[8:9], v[4:5]
	v_add_f64 v[6:7], v[10:11], v[6:7]
	;; [unrolled: 1-line block ×3, first 2 shown]
	v_fma_f64 v[114:115], v[34:35], s[4:5], v[173:174]
	v_fma_f64 v[8:9], v[40:41], s[24:25], v[155:156]
	;; [unrolled: 1-line block ×3, first 2 shown]
	v_fma_f64 v[173:174], v[34:35], s[4:5], -v[173:174]
	v_fma_f64 v[155:156], v[40:41], s[6:7], v[155:156]
	v_add_f64 v[118:119], v[147:148], v[118:119]
	v_add_f64 v[12:13], v[2:3], v[12:13]
	;; [unrolled: 1-line block ×3, first 2 shown]
	v_fma_f64 v[147:148], v[98:99], s[14:15], -v[157:158]
	v_fma_f64 v[157:158], v[108:109], s[36:37], -v[177:178]
	v_fma_f64 v[215:216], v[40:41], s[42:43], v[26:27]
	v_add_f64 v[14:15], v[2:3], v[14:15]
	v_mul_f64 v[209:210], v[100:101], s[18:19]
	v_fma_f64 v[249:250], v[82:83], s[52:53], v[167:168]
	v_fma_f64 v[251:252], v[68:69], s[34:35], v[169:170]
	;; [unrolled: 1-line block ×3, first 2 shown]
	v_fma_f64 v[165:166], v[78:79], s[50:51], -v[165:166]
	v_mul_f64 v[191:192], v[84:85], s[10:11]
	v_mul_f64 v[211:212], v[96:97], s[38:39]
	v_add_f64 v[4:5], v[4:5], v[64:65]
	v_add_f64 v[6:7], v[6:7], v[66:67]
	v_fma_f64 v[64:65], v[108:109], s[36:37], v[177:178]
	v_fma_f64 v[66:67], v[32:33], s[46:47], v[179:180]
	v_add_f64 v[16:17], v[149:150], v[16:17]
	v_add_f64 v[149:150], v[239:240], v[205:206]
	;; [unrolled: 1-line block ×4, first 2 shown]
	v_fma_f64 v[177:178], v[32:33], s[16:17], v[179:180]
	v_fma_f64 v[179:180], v[104:105], s[34:35], v[24:25]
	;; [unrolled: 1-line block ×3, first 2 shown]
	v_add_f64 v[8:9], v[8:9], v[22:23]
	v_add_f64 v[12:13], v[175:176], v[12:13]
	v_fma_f64 v[24:25], v[98:99], s[50:51], v[181:182]
	v_fma_f64 v[237:238], v[108:109], s[34:35], v[197:198]
	;; [unrolled: 1-line block ×4, first 2 shown]
	v_fma_f64 v[181:182], v[98:99], s[50:51], -v[181:182]
	v_mul_f64 v[213:214], v[92:93], s[40:41]
	v_fma_f64 v[229:230], v[70:71], s[42:43], v[171:172]
	v_fma_f64 v[167:168], v[82:83], s[44:45], v[167:168]
	;; [unrolled: 1-line block ×3, first 2 shown]
	v_add_f64 v[4:5], v[4:5], v[60:61]
	v_add_f64 v[6:7], v[6:7], v[62:63]
	;; [unrolled: 1-line block ×3, first 2 shown]
	v_fma_f64 v[151:152], v[40:41], s[26:27], v[26:27]
	v_fma_f64 v[26:27], v[34:35], s[36:37], v[193:194]
	v_add_f64 v[16:17], v[153:154], v[16:17]
	v_add_f64 v[10:11], v[10:11], v[149:150]
	;; [unrolled: 1-line block ×3, first 2 shown]
	v_fma_f64 v[62:63], v[94:95], s[44:45], v[183:184]
	v_fma_f64 v[118:119], v[88:89], s[0:1], v[187:188]
	v_add_f64 v[14:15], v[122:123], v[14:15]
	v_add_f64 v[8:9], v[241:242], v[8:9]
	;; [unrolled: 1-line block ×5, first 2 shown]
	v_fma_f64 v[183:184], v[94:95], s[52:53], v[183:184]
	v_fma_f64 v[149:150], v[104:105], s[14:15], v[201:202]
	;; [unrolled: 1-line block ×3, first 2 shown]
	v_fma_f64 v[193:194], v[34:35], s[36:37], -v[193:194]
	v_fma_f64 v[195:196], v[28:29], s[16:17], v[195:196]
	v_fma_f64 v[64:65], v[108:109], s[34:35], -v[197:198]
	v_add_f64 v[131:132], v[0:1], v[131:132]
	v_add_f64 v[4:5], v[4:5], v[56:57]
	v_add_f64 v[6:7], v[6:7], v[58:59]
	v_add_f64 v[56:57], v[155:156], v[60:61]
	v_add_f64 v[58:59], v[66:67], v[114:115]
	v_add_f64 v[60:61], v[173:174], v[120:121]
	v_add_f64 v[66:67], v[0:1], v[127:128]
	v_add_f64 v[26:27], v[26:27], v[124:125]
	v_add_f64 v[16:17], v[147:148], v[16:17]
	v_add_f64 v[10:11], v[243:244], v[10:11]
	v_add_f64 v[127:128], v[2:3], v[141:142]
	v_add_f64 v[18:19], v[179:180], v[18:19]
	v_add_f64 v[114:115], v[2:3], v[137:138]
	v_add_f64 v[137:138], v[2:3], v[231:232]
	v_add_f64 v[14:15], v[22:23], v[14:15]
	v_add_f64 v[8:9], v[245:246], v[8:9]
	v_fma_f64 v[155:156], v[98:99], s[18:19], v[207:208]
	v_add_f64 v[120:121], v[0:1], v[217:218]
	v_add_f64 v[124:125], v[0:1], v[129:130]
	;; [unrolled: 1-line block ×4, first 2 shown]
	v_mul_f64 v[177:178], v[100:101], s[10:11]
	v_mul_f64 v[179:180], v[84:85], s[36:37]
	v_add_f64 v[4:5], v[4:5], v[52:53]
	v_add_f64 v[6:7], v[6:7], v[54:55]
	;; [unrolled: 1-line block ×18, first 2 shown]
	v_mul_f64 v[116:117], v[30:31], s[26:27]
	v_add_f64 v[114:115], v[195:196], v[114:115]
	v_fma_f64 v[153:154], v[88:89], s[48:49], v[213:214]
	v_mul_f64 v[161:162], v[112:113], s[28:29]
	v_add_f64 v[4:5], v[4:5], v[48:49]
	v_add_f64 v[6:7], v[6:7], v[50:51]
	v_add_f64 v[50:51], v[2:3], v[38:39]
	v_add_f64 v[62:63], v[62:63], v[141:142]
	v_add_f64 v[133:134], v[253:254], v[143:144]
	v_add_f64 v[38:39], v[2:3], v[20:21]
	v_add_f64 v[2:3], v[151:152], v[12:13]
	v_add_f64 v[22:23], v[163:164], v[52:53]
	v_add_f64 v[48:49], v[0:1], v[135:136]
	v_add_f64 v[52:53], v[0:1], v[227:228]
	v_add_f64 v[12:13], v[149:150], v[159:160]
	v_add_f64 v[20:21], v[193:194], v[66:67]
	v_add_f64 v[16:17], v[165:166], v[16:17]
	v_add_f64 v[0:1], v[251:252], v[10:11]
	v_fma_f64 v[10:11], v[68:69], s[34:35], -v[169:170]
	v_mul_f64 v[66:67], v[80:81], s[48:49]
	v_add_f64 v[18:19], v[205:206], v[18:19]
	v_fma_f64 v[143:144], v[88:89], s[28:29], v[187:188]
	v_mul_f64 v[135:136], v[36:37], s[34:35]
	v_fma_f64 v[141:142], v[82:83], s[12:13], v[191:192]
	v_add_f64 v[14:15], v[239:240], v[14:15]
	v_fma_f64 v[149:150], v[86:87], s[40:41], v[211:212]
	v_add_f64 v[4:5], v[4:5], v[44:45]
	v_add_f64 v[6:7], v[6:7], v[46:47]
	v_fma_f64 v[46:47], v[78:79], s[10:11], v[189:190]
	v_add_f64 v[62:63], v[118:119], v[62:63]
	v_add_f64 v[118:119], v[181:182], v[133:134]
	v_fma_f64 v[133:134], v[86:87], s[14:15], -v[185:186]
	v_add_f64 v[145:146], v[183:184], v[2:3]
	v_fma_f64 v[44:45], v[70:71], s[26:27], v[171:172]
	v_add_f64 v[22:23], v[167:168], v[22:23]
	v_fma_f64 v[151:152], v[32:33], s[42:43], v[199:200]
	v_add_f64 v[12:13], v[155:156], v[12:13]
	v_add_f64 v[20:21], v[64:65], v[20:21]
	v_fma_f64 v[64:65], v[104:105], s[14:15], -v[201:202]
	v_add_f64 v[2:3], v[229:230], v[8:9]
	v_mul_f64 v[155:156], v[90:91], s[6:7]
	v_mul_f64 v[159:160], v[84:85], s[4:5]
	v_add_f64 v[8:9], v[10:11], v[16:17]
	v_fma_f64 v[16:17], v[34:35], s[34:35], v[116:117]
	v_mul_f64 v[165:166], v[76:77], s[40:41]
	v_fma_f64 v[167:168], v[68:69], s[40:41], v[66:67]
	v_fma_f64 v[169:170], v[78:79], s[10:11], -v[189:190]
	v_mul_f64 v[163:164], v[110:111], s[14:15]
	v_add_f64 v[14:15], v[153:154], v[14:15]
	v_mul_f64 v[153:154], v[42:43], s[48:49]
	v_add_f64 v[18:19], v[46:47], v[18:19]
	v_add_f64 v[62:63], v[141:142], v[62:63]
	v_mul_f64 v[46:47], v[80:81], s[44:45]
	v_add_f64 v[118:119], v[133:134], v[118:119]
	v_add_f64 v[133:134], v[143:144], v[145:146]
	v_fma_f64 v[143:144], v[82:83], s[30:31], v[191:192]
	v_add_f64 v[10:11], v[44:45], v[22:23]
	v_fma_f64 v[22:23], v[28:29], s[42:43], v[135:136]
	v_add_f64 v[141:142], v[149:150], v[12:13]
	v_add_f64 v[114:115], v[151:152], v[114:115]
	v_fma_f64 v[145:146], v[40:41], s[28:29], v[203:204]
	v_add_f64 v[20:21], v[64:65], v[20:21]
	v_fma_f64 v[64:65], v[98:99], s[18:19], -v[207:208]
	v_fma_f64 v[149:150], v[78:79], s[4:5], v[155:156]
	v_fma_f64 v[151:152], v[82:83], s[24:25], v[159:160]
	v_mul_f64 v[44:45], v[76:77], s[50:51]
	v_add_f64 v[16:17], v[16:17], v[120:121]
	v_fma_f64 v[120:121], v[108:109], s[14:15], v[161:162]
	v_fma_f64 v[173:174], v[70:71], s[38:39], v[165:166]
	v_fma_f64 v[66:67], v[68:69], s[40:41], -v[66:67]
	v_mul_f64 v[171:172], v[106:107], s[40:41]
	v_fma_f64 v[116:117], v[34:35], s[34:35], -v[116:117]
	v_add_f64 v[12:13], v[167:168], v[18:19]
	v_fma_f64 v[135:136], v[28:29], s[26:27], v[135:136]
	v_fma_f64 v[161:162], v[108:109], s[14:15], -v[161:162]
	v_add_f64 v[18:19], v[169:170], v[118:119]
	v_fma_f64 v[169:170], v[104:105], s[40:41], v[153:154]
	v_add_f64 v[118:119], v[143:144], v[133:134]
	v_mul_f64 v[143:144], v[30:31], s[52:53]
	v_add_f64 v[22:23], v[22:23], v[122:123]
	v_fma_f64 v[122:123], v[32:33], s[0:1], v[163:164]
	v_fma_f64 v[133:134], v[70:71], s[48:49], v[165:166]
	v_add_f64 v[114:115], v[145:146], v[114:115]
	v_fma_f64 v[145:146], v[94:95], s[20:21], v[209:210]
	v_mul_f64 v[165:166], v[36:37], s[50:51]
	v_add_f64 v[20:21], v[64:65], v[20:21]
	v_fma_f64 v[64:65], v[86:87], s[40:41], -v[211:212]
	v_add_f64 v[141:142], v[149:150], v[141:142]
	v_add_f64 v[149:150], v[151:152], v[14:15]
	v_fma_f64 v[151:152], v[68:69], s[50:51], v[46:47]
	v_fma_f64 v[167:168], v[70:71], s[52:53], v[44:45]
	v_add_f64 v[120:121], v[120:121], v[16:17]
	v_add_f64 v[14:15], v[173:174], v[62:63]
	v_fma_f64 v[175:176], v[40:41], s[38:39], v[171:172]
	v_add_f64 v[116:117], v[116:117], v[124:125]
	v_mul_f64 v[124:125], v[102:103], s[12:13]
	v_fma_f64 v[155:156], v[78:79], s[4:5], -v[155:156]
	v_add_f64 v[16:17], v[66:67], v[18:19]
	v_mul_f64 v[66:67], v[112:113], s[20:21]
	v_add_f64 v[127:128], v[135:136], v[127:128]
	v_fma_f64 v[62:63], v[34:35], s[50:51], v[143:144]
	v_fma_f64 v[135:136], v[32:33], s[28:29], v[163:164]
	v_add_f64 v[122:123], v[122:123], v[22:23]
	v_add_f64 v[18:19], v[133:134], v[118:119]
	v_mul_f64 v[133:134], v[110:111], s[18:19]
	v_add_f64 v[114:115], v[145:146], v[114:115]
	v_fma_f64 v[118:119], v[28:29], s[44:45], v[165:166]
	v_fma_f64 v[145:146], v[88:89], s[38:39], v[213:214]
	v_add_f64 v[64:65], v[64:65], v[20:21]
	v_fma_f64 v[163:164], v[94:95], s[30:31], v[177:178]
	v_fma_f64 v[153:154], v[104:105], s[40:41], -v[153:154]
	v_add_f64 v[20:21], v[151:152], v[141:142]
	v_add_f64 v[22:23], v[167:168], v[149:150]
	v_mul_f64 v[141:142], v[30:31], s[28:29]
	v_mul_f64 v[149:150], v[36:37], s[14:15]
	v_add_f64 v[120:121], v[169:170], v[120:121]
	v_mul_f64 v[169:170], v[42:43], s[12:13]
	v_fma_f64 v[151:152], v[98:99], s[10:11], v[124:125]
	v_add_f64 v[116:117], v[161:162], v[116:117]
	v_mul_f64 v[161:162], v[96:97], s[44:45]
	v_mul_f64 v[167:168], v[92:93], s[50:51]
	;; [unrolled: 1-line block ×3, first 2 shown]
	v_add_f64 v[62:63], v[62:63], v[129:130]
	v_fma_f64 v[129:130], v[108:109], s[18:19], v[66:67]
	v_add_f64 v[122:123], v[175:176], v[122:123]
	v_fma_f64 v[143:144], v[34:35], s[50:51], -v[143:144]
	v_add_f64 v[127:128], v[135:136], v[127:128]
	v_fma_f64 v[135:136], v[28:29], s[52:53], v[165:166]
	v_add_f64 v[118:119], v[118:119], v[137:138]
	v_fma_f64 v[137:138], v[32:33], s[22:23], v[133:134]
	v_add_f64 v[114:115], v[145:146], v[114:115]
	v_add_f64 v[64:65], v[155:156], v[64:65]
	v_fma_f64 v[145:146], v[40:41], s[48:49], v[171:172]
	v_mul_f64 v[171:172], v[112:113], s[38:39]
	v_mul_f64 v[175:176], v[110:111], s[40:41]
	v_fma_f64 v[155:156], v[34:35], s[14:15], v[141:142]
	v_fma_f64 v[165:166], v[28:29], s[0:1], v[149:150]
	v_fma_f64 v[159:160], v[82:83], s[6:7], v[159:160]
	v_mul_f64 v[181:182], v[102:103], s[26:27]
	v_add_f64 v[120:121], v[151:152], v[120:121]
	v_add_f64 v[116:117], v[153:154], v[116:117]
	v_fma_f64 v[151:152], v[86:87], s[50:51], v[161:162]
	v_fma_f64 v[153:154], v[88:89], s[52:53], v[167:168]
	v_mul_f64 v[183:184], v[100:101], s[34:35]
	v_fma_f64 v[66:67], v[108:109], s[18:19], -v[66:67]
	v_add_f64 v[62:63], v[129:130], v[62:63]
	v_fma_f64 v[129:130], v[104:105], s[10:11], v[169:170]
	v_add_f64 v[122:123], v[163:164], v[122:123]
	v_mul_f64 v[163:164], v[90:91], s[46:47]
	v_add_f64 v[131:132], v[143:144], v[131:132]
	v_add_f64 v[135:136], v[135:136], v[139:140]
	;; [unrolled: 1-line block ×3, first 2 shown]
	v_fma_f64 v[137:138], v[40:41], s[30:31], v[173:174]
	v_fma_f64 v[133:134], v[32:33], s[20:21], v[133:134]
	v_add_f64 v[127:128], v[145:146], v[127:128]
	v_fma_f64 v[124:125], v[98:99], s[10:11], -v[124:125]
	v_fma_f64 v[145:146], v[94:95], s[12:13], v[177:178]
	v_add_f64 v[139:140], v[155:156], v[147:148]
	v_add_f64 v[143:144], v[165:166], v[157:158]
	v_fma_f64 v[147:148], v[108:109], s[40:41], v[171:172]
	v_fma_f64 v[155:156], v[32:33], s[48:49], v[175:176]
	v_mul_f64 v[157:158], v[42:43], s[44:45]
	v_mul_f64 v[165:166], v[106:107], s[50:51]
	v_add_f64 v[114:115], v[159:160], v[114:115]
	v_mul_f64 v[159:160], v[96:97], s[24:25]
	v_add_f64 v[120:121], v[151:152], v[120:121]
	v_mul_f64 v[177:178], v[92:93], s[4:5]
	v_fma_f64 v[44:45], v[70:71], s[44:45], v[44:45]
	v_add_f64 v[62:63], v[129:130], v[62:63]
	v_fma_f64 v[129:130], v[98:99], s[34:35], v[181:182]
	v_fma_f64 v[151:152], v[78:79], s[36:37], v[163:164]
	v_add_f64 v[122:123], v[153:154], v[122:123]
	v_fma_f64 v[153:154], v[82:83], s[16:17], v[179:180]
	v_add_f64 v[66:67], v[66:67], v[131:132]
	v_add_f64 v[118:119], v[137:138], v[118:119]
	v_fma_f64 v[137:138], v[94:95], s[42:43], v[183:184]
	v_fma_f64 v[131:132], v[104:105], s[10:11], -v[169:170]
	v_add_f64 v[133:134], v[133:134], v[135:136]
	v_fma_f64 v[135:136], v[40:41], s[12:13], v[173:174]
	v_mul_f64 v[169:170], v[102:103], s[24:25]
	v_mul_f64 v[173:174], v[100:101], s[4:5]
	v_add_f64 v[139:140], v[147:148], v[139:140]
	v_add_f64 v[143:144], v[155:156], v[143:144]
	v_fma_f64 v[147:148], v[104:105], s[50:51], v[157:158]
	v_fma_f64 v[155:156], v[40:41], s[52:53], v[165:166]
	v_add_f64 v[116:117], v[124:125], v[116:117]
	v_add_f64 v[124:125], v[145:146], v[127:128]
	v_fma_f64 v[127:128], v[34:35], s[14:15], -v[141:142]
	v_fma_f64 v[141:142], v[28:29], s[28:29], v[149:150]
	v_fma_f64 v[145:146], v[86:87], s[50:51], -v[161:162]
	v_fma_f64 v[149:150], v[88:89], s[44:45], v[167:168]
	v_add_f64 v[62:63], v[129:130], v[62:63]
	v_fma_f64 v[129:130], v[86:87], s[4:5], v[159:160]
	v_add_f64 v[120:121], v[151:152], v[120:121]
	v_add_f64 v[122:123], v[153:154], v[122:123]
	v_mul_f64 v[151:152], v[90:91], s[38:39]
	v_fma_f64 v[153:154], v[98:99], s[34:35], -v[181:182]
	v_add_f64 v[118:119], v[137:138], v[118:119]
	v_fma_f64 v[137:138], v[88:89], s[6:7], v[177:178]
	v_add_f64 v[66:67], v[131:132], v[66:67]
	v_add_f64 v[133:134], v[135:136], v[133:134]
	v_fma_f64 v[135:136], v[94:95], s[26:27], v[183:184]
	v_mul_f64 v[161:162], v[96:97], s[22:23]
	v_mul_f64 v[167:168], v[92:93], s[18:19]
	;; [unrolled: 1-line block ×3, first 2 shown]
	v_add_f64 v[139:140], v[147:148], v[139:140]
	v_add_f64 v[143:144], v[155:156], v[143:144]
	v_fma_f64 v[147:148], v[98:99], s[4:5], v[169:170]
	v_fma_f64 v[155:156], v[94:95], s[6:7], v[173:174]
	v_add_f64 v[58:59], v[127:128], v[58:59]
	v_add_f64 v[60:61], v[141:142], v[60:61]
	v_fma_f64 v[127:128], v[108:109], s[40:41], -v[171:172]
	v_fma_f64 v[141:142], v[32:33], s[38:39], v[175:176]
	v_add_f64 v[116:117], v[145:146], v[116:117]
	v_add_f64 v[124:125], v[149:150], v[124:125]
	v_mul_f64 v[145:146], v[30:31], s[30:31]
	v_fma_f64 v[149:150], v[78:79], s[36:37], -v[163:164]
	v_mul_f64 v[163:164], v[36:37], s[10:11]
	v_add_f64 v[62:63], v[129:130], v[62:63]
	v_fma_f64 v[129:130], v[82:83], s[46:47], v[179:180]
	v_mul_f64 v[30:31], v[30:31], s[48:49]
	v_mul_f64 v[36:37], v[36:37], s[40:41]
	v_add_f64 v[118:119], v[137:138], v[118:119]
	v_fma_f64 v[137:138], v[78:79], s[40:41], v[151:152]
	v_add_f64 v[66:67], v[153:154], v[66:67]
	v_fma_f64 v[153:154], v[86:87], s[4:5], -v[159:160]
	v_add_f64 v[133:134], v[135:136], v[133:134]
	v_fma_f64 v[135:136], v[88:89], s[24:25], v[177:178]
	v_mul_f64 v[159:160], v[112:113], s[6:7]
	v_add_f64 v[139:140], v[147:148], v[139:140]
	v_add_f64 v[143:144], v[155:156], v[143:144]
	v_fma_f64 v[147:148], v[86:87], s[18:19], v[161:162]
	v_fma_f64 v[155:156], v[88:89], s[20:21], v[167:168]
	v_add_f64 v[58:59], v[127:128], v[58:59]
	v_add_f64 v[60:61], v[141:142], v[60:61]
	v_fma_f64 v[127:128], v[104:105], s[50:51], -v[157:158]
	v_fma_f64 v[141:142], v[40:41], s[44:45], v[165:166]
	v_fma_f64 v[157:158], v[34:35], s[10:11], v[145:146]
	v_mul_f64 v[175:176], v[110:111], s[4:5]
	v_fma_f64 v[165:166], v[28:29], s[12:13], v[163:164]
	v_fma_f64 v[145:146], v[34:35], s[10:11], -v[145:146]
	v_fma_f64 v[163:164], v[28:29], s[30:31], v[163:164]
	v_fma_f64 v[177:178], v[34:35], s[40:41], v[30:31]
	v_add_f64 v[124:125], v[129:130], v[124:125]
	v_mul_f64 v[112:113], v[112:113], s[44:45]
	v_fma_f64 v[129:130], v[28:29], s[38:39], v[36:37]
	v_mul_f64 v[110:111], v[110:111], s[50:51]
	v_fma_f64 v[30:31], v[34:35], s[40:41], -v[30:31]
	v_fma_f64 v[28:29], v[28:29], s[48:49], v[36:37]
	v_add_f64 v[62:63], v[137:138], v[62:63]
	v_add_f64 v[34:35], v[153:154], v[66:67]
	;; [unrolled: 1-line block ×3, first 2 shown]
	v_fma_f64 v[137:138], v[108:109], s[4:5], -v[159:160]
	v_add_f64 v[66:67], v[147:148], v[139:140]
	v_add_f64 v[133:134], v[155:156], v[143:144]
	v_mul_f64 v[139:140], v[42:43], s[46:47]
	v_mul_f64 v[143:144], v[106:107], s[36:37]
	v_add_f64 v[58:59], v[127:128], v[58:59]
	v_add_f64 v[60:61], v[141:142], v[60:61]
	;; [unrolled: 1-line block ×3, first 2 shown]
	v_fma_f64 v[127:128], v[108:109], s[4:5], v[159:160]
	v_add_f64 v[54:55], v[165:166], v[54:55]
	v_fma_f64 v[135:136], v[32:33], s[24:25], v[175:176]
	v_add_f64 v[48:49], v[145:146], v[48:49]
	v_add_f64 v[50:51], v[163:164], v[50:51]
	;; [unrolled: 1-line block ×3, first 2 shown]
	v_fma_f64 v[141:142], v[32:33], s[6:7], v[175:176]
	v_fma_f64 v[145:146], v[108:109], s[50:51], v[112:113]
	v_add_f64 v[24:25], v[129:130], v[24:25]
	v_fma_f64 v[129:130], v[32:33], s[52:53], v[110:111]
	v_add_f64 v[26:27], v[30:31], v[26:27]
	v_fma_f64 v[30:31], v[108:109], s[50:51], -v[112:113]
	v_mul_f64 v[42:43], v[42:43], s[20:21]
	v_add_f64 v[28:29], v[28:29], v[38:39]
	v_fma_f64 v[32:33], v[32:33], s[44:45], v[110:111]
	v_mul_f64 v[106:107], v[106:107], s[18:19]
	v_fma_f64 v[112:113], v[98:99], s[4:5], -v[169:170]
	v_add_f64 v[116:117], v[149:150], v[116:117]
	v_fma_f64 v[147:148], v[86:87], s[18:19], -v[161:162]
	v_fma_f64 v[149:150], v[88:89], s[22:23], v[167:168]
	v_fma_f64 v[171:172], v[82:83], s[48:49], v[131:132]
	v_fma_f64 v[38:39], v[68:69], s[50:51], -v[46:47]
	v_add_f64 v[56:57], v[127:128], v[56:57]
	v_fma_f64 v[127:128], v[94:95], s[24:25], v[173:174]
	v_add_f64 v[54:55], v[135:136], v[54:55]
	v_add_f64 v[48:49], v[137:138], v[48:49]
	v_fma_f64 v[135:136], v[104:105], s[36:37], v[139:140]
	v_fma_f64 v[137:138], v[40:41], s[16:17], v[143:144]
	v_add_f64 v[50:51], v[141:142], v[50:51]
	v_add_f64 v[52:53], v[145:146], v[52:53]
	v_mul_f64 v[141:142], v[102:103], s[38:39]
	v_add_f64 v[24:25], v[129:130], v[24:25]
	v_mul_f64 v[129:130], v[100:101], s[40:41]
	v_fma_f64 v[139:140], v[104:105], s[36:37], -v[139:140]
	v_fma_f64 v[143:144], v[40:41], s[46:47], v[143:144]
	v_add_f64 v[26:27], v[30:31], v[26:27]
	v_fma_f64 v[30:31], v[104:105], s[18:19], v[42:43]
	v_add_f64 v[28:29], v[32:33], v[28:29]
	v_fma_f64 v[42:43], v[104:105], s[18:19], -v[42:43]
	v_fma_f64 v[104:105], v[40:41], s[22:23], v[106:107]
	v_mul_f64 v[102:103], v[102:103], s[16:17]
	v_fma_f64 v[40:41], v[40:41], s[20:21], v[106:107]
	v_mul_f64 v[100:101], v[100:101], s[36:37]
	v_add_f64 v[58:59], v[112:113], v[58:59]
	v_mul_f64 v[46:47], v[80:81], s[20:21]
	v_add_f64 v[60:61], v[127:128], v[60:61]
	v_mul_f64 v[110:111], v[80:81], s[16:17]
	v_fma_f64 v[145:146], v[78:79], s[40:41], -v[151:152]
	v_add_f64 v[56:57], v[135:136], v[56:57]
	v_add_f64 v[54:55], v[137:138], v[54:55]
	v_mul_f64 v[135:136], v[90:91], s[26:27]
	v_fma_f64 v[131:132], v[82:83], s[38:39], v[131:132]
	v_fma_f64 v[137:138], v[98:99], s[40:41], v[141:142]
	v_fma_f64 v[141:142], v[98:99], s[40:41], -v[141:142]
	v_mul_f64 v[108:109], v[76:77], s[18:19]
	v_add_f64 v[48:49], v[139:140], v[48:49]
	v_fma_f64 v[139:140], v[94:95], s[48:49], v[129:130]
	v_add_f64 v[50:51], v[143:144], v[50:51]
	v_mul_f64 v[143:144], v[96:97], s[26:27]
	v_add_f64 v[30:31], v[30:31], v[52:53]
	v_mul_f64 v[52:53], v[92:93], s[34:35]
	v_fma_f64 v[129:130], v[94:95], s[38:39], v[129:130]
	v_add_f64 v[24:25], v[104:105], v[24:25]
	v_fma_f64 v[104:105], v[98:99], s[36:37], v[102:103]
	v_add_f64 v[26:27], v[42:43], v[26:27]
	v_add_f64 v[28:29], v[40:41], v[28:29]
	v_fma_f64 v[40:41], v[94:95], s[46:47], v[100:101]
	v_mul_f64 v[96:97], v[96:97], s[30:31]
	v_fma_f64 v[98:99], v[98:99], s[36:37], -v[102:103]
	v_mul_f64 v[92:93], v[92:93], s[10:11]
	v_fma_f64 v[94:95], v[94:95], s[16:17], v[100:101]
	v_mul_f64 v[42:43], v[84:85], s[34:35]
	v_fma_f64 v[100:101], v[78:79], s[34:35], v[135:136]
	v_add_f64 v[58:59], v[147:148], v[58:59]
	v_add_f64 v[56:57], v[137:138], v[56:57]
	;; [unrolled: 1-line block ×3, first 2 shown]
	v_mul_f64 v[112:113], v[76:77], s[36:37]
	v_add_f64 v[48:49], v[141:142], v[48:49]
	v_add_f64 v[54:55], v[139:140], v[54:55]
	v_mul_f64 v[141:142], v[90:91], s[20:21]
	v_fma_f64 v[137:138], v[86:87], s[34:35], v[143:144]
	v_mul_f64 v[90:91], v[90:91], s[0:1]
	v_fma_f64 v[139:140], v[88:89], s[42:43], v[52:53]
	v_add_f64 v[50:51], v[129:130], v[50:51]
	v_mul_f64 v[129:130], v[84:85], s[18:19]
	v_add_f64 v[30:31], v[104:105], v[30:31]
	v_mul_f64 v[84:85], v[84:85], s[14:15]
	v_fma_f64 v[143:144], v[86:87], s[34:35], -v[143:144]
	v_add_f64 v[24:25], v[40:41], v[24:25]
	v_fma_f64 v[40:41], v[86:87], s[10:11], v[96:97]
	v_add_f64 v[26:27], v[98:99], v[26:27]
	v_fma_f64 v[98:99], v[88:89], s[12:13], v[92:93]
	v_fma_f64 v[52:53], v[88:89], s[26:27], v[52:53]
	v_add_f64 v[28:29], v[94:95], v[28:29]
	v_fma_f64 v[86:87], v[86:87], s[10:11], -v[96:97]
	v_fma_f64 v[88:89], v[88:89], s[30:31], v[92:93]
	v_fma_f64 v[104:105], v[82:83], s[42:43], v[42:43]
	v_mul_f64 v[94:95], v[80:81], s[30:31]
	v_fma_f64 v[92:93], v[78:79], s[34:35], -v[135:136]
	v_fma_f64 v[42:43], v[82:83], s[26:27], v[42:43]
	v_mul_f64 v[96:97], v[76:77], s[10:11]
	v_fma_f64 v[135:136], v[78:79], s[18:19], v[141:142]
	v_add_f64 v[56:57], v[137:138], v[56:57]
	v_mul_f64 v[147:148], v[76:77], s[14:15]
	v_add_f64 v[54:55], v[139:140], v[54:55]
	v_mul_f64 v[139:140], v[80:81], s[0:1]
	v_mul_f64 v[80:81], v[80:81], s[24:25]
	v_fma_f64 v[137:138], v[82:83], s[22:23], v[129:130]
	v_mul_f64 v[76:77], v[76:77], s[4:5]
	v_fma_f64 v[129:130], v[82:83], s[20:21], v[129:130]
	v_add_f64 v[48:49], v[143:144], v[48:49]
	v_add_f64 v[30:31], v[40:41], v[30:31]
	v_fma_f64 v[40:41], v[78:79], s[14:15], v[90:91]
	v_add_f64 v[24:25], v[98:99], v[24:25]
	v_fma_f64 v[98:99], v[82:83], s[28:29], v[84:85]
	v_add_f64 v[50:51], v[52:53], v[50:51]
	v_fma_f64 v[52:53], v[78:79], s[18:19], -v[141:142]
	v_add_f64 v[26:27], v[86:87], v[26:27]
	v_add_f64 v[28:29], v[88:89], v[28:29]
	v_fma_f64 v[78:79], v[78:79], s[14:15], -v[90:91]
	v_fma_f64 v[82:83], v[82:83], s[0:1], v[84:85]
	v_fma_f64 v[32:33], v[68:69], s[18:19], v[46:47]
	v_fma_f64 v[46:47], v[68:69], s[18:19], -v[46:47]
	v_fma_f64 v[127:128], v[68:69], s[36:37], v[110:111]
	v_add_f64 v[84:85], v[145:146], v[34:35]
	v_add_f64 v[86:87], v[131:132], v[36:37]
	v_fma_f64 v[90:91], v[68:69], s[10:11], v[94:95]
	v_add_f64 v[58:59], v[92:93], v[58:59]
	v_add_f64 v[92:93], v[42:43], v[60:61]
	v_fma_f64 v[60:61], v[68:69], s[10:11], -v[94:95]
	v_add_f64 v[56:57], v[135:136], v[56:57]
	v_fma_f64 v[94:95], v[68:69], s[14:15], v[139:140]
	v_fma_f64 v[131:132], v[68:69], s[14:15], -v[139:140]
	v_fma_f64 v[135:136], v[68:69], s[4:5], v[80:81]
	v_fma_f64 v[80:81], v[68:69], s[4:5], -v[80:81]
	v_fma_f64 v[68:69], v[68:69], s[36:37], -v[110:111]
	v_fma_f64 v[106:107], v[70:71], s[22:23], v[108:109]
	v_fma_f64 v[108:109], v[70:71], s[20:21], v[108:109]
	;; [unrolled: 1-line block ×3, first 2 shown]
	v_add_f64 v[66:67], v[100:101], v[66:67]
	v_add_f64 v[88:89], v[104:105], v[133:134]
	v_fma_f64 v[100:101], v[70:71], s[12:13], v[96:97]
	v_add_f64 v[54:55], v[137:138], v[54:55]
	v_fma_f64 v[104:105], v[70:71], s[28:29], v[147:148]
	v_add_f64 v[133:134], v[40:41], v[30:31]
	v_add_f64 v[98:99], v[98:99], v[24:25]
	v_fma_f64 v[137:138], v[70:71], s[6:7], v[76:77]
	v_fma_f64 v[76:77], v[70:71], s[24:25], v[76:77]
	;; [unrolled: 1-line block ×5, first 2 shown]
	v_add_f64 v[118:119], v[171:172], v[118:119]
	v_add_f64 v[78:79], v[78:79], v[26:27]
	;; [unrolled: 1-line block ×7, first 2 shown]
	v_and_b32_e32 v68, 0xff, v72
	v_add_f64 v[26:27], v[44:45], v[114:115]
	v_add_f64 v[28:29], v[32:33], v[120:121]
	;; [unrolled: 1-line block ×4, first 2 shown]
	v_mul_lo_u16 v68, 0xf1, v68
	v_add_f64 v[44:45], v[60:61], v[58:59]
	v_add_f64 v[48:49], v[94:95], v[56:57]
	;; [unrolled: 1-line block ×15, first 2 shown]
	v_mad_u32_u24 v69, 0x110, v72, 0
	v_lshrrev_b16 v73, 12, v68
	v_add_f64 v[46:47], v[96:97], v[92:93]
	s_barrier
	buffer_gl0_inv
	ds_write_b128 v69, v[4:7]
	ds_write_b128 v69, v[0:3] offset:16
	ds_write_b128 v69, v[12:15] offset:32
	;; [unrolled: 1-line block ×3, first 2 shown]
	v_mul_lo_u16 v0, v73, 17
	ds_write_b128 v69, v[28:31] offset:64
	ds_write_b128 v69, v[36:39] offset:80
	;; [unrolled: 1-line block ×4, first 2 shown]
	v_sub_nc_u16 v127, v72, v0
	v_mov_b32_e32 v0, 8
	ds_write_b128 v69, v[56:59] offset:128
	ds_write_b128 v69, v[60:63] offset:144
	;; [unrolled: 1-line block ×8, first 2 shown]
	v_lshlrev_b32_sdwa v0, v0, v127 dst_sel:DWORD dst_unused:UNUSED_PAD src0_sel:DWORD src1_sel:BYTE_0
	ds_write_b128 v69, v[8:11] offset:256
	s_waitcnt lgkmcnt(0)
	s_barrier
	buffer_gl0_inv
	s_clause 0xf
	global_load_dwordx4 v[4:7], v0, s[8:9]
	global_load_dwordx4 v[8:11], v0, s[8:9] offset:16
	global_load_dwordx4 v[12:15], v0, s[8:9] offset:32
	;; [unrolled: 1-line block ×15, first 2 shown]
	ds_read_b128 v[28:31], v126 offset:1632
	ds_read_b128 v[44:47], v126 offset:3264
	ds_read_b128 v[0:3], v126
	ds_read_b128 v[48:51], v126 offset:4896
	s_waitcnt vmcnt(15) lgkmcnt(3)
	v_mul_f64 v[56:57], v[30:31], v[6:7]
	v_mul_f64 v[6:7], v[28:29], v[6:7]
	s_waitcnt vmcnt(14) lgkmcnt(2)
	v_mul_f64 v[58:59], v[46:47], v[10:11]
	v_mul_f64 v[10:11], v[44:45], v[10:11]
	v_fma_f64 v[104:105], v[28:29], v[4:5], v[56:57]
	v_fma_f64 v[106:107], v[30:31], v[4:5], -v[6:7]
	ds_read_b128 v[4:7], v126 offset:6528
	v_fma_f64 v[108:109], v[44:45], v[8:9], v[58:59]
	s_waitcnt vmcnt(13) lgkmcnt(1)
	v_mul_f64 v[28:29], v[50:51], v[14:15]
	v_fma_f64 v[110:111], v[46:47], v[8:9], -v[10:11]
	v_mul_f64 v[14:15], v[48:49], v[14:15]
	ds_read_b128 v[8:11], v126 offset:8160
	v_add_f64 v[30:31], v[0:1], v[104:105]
	v_add_f64 v[44:45], v[2:3], v[106:107]
	s_waitcnt vmcnt(12) lgkmcnt(1)
	v_mul_f64 v[46:47], v[6:7], v[18:19]
	v_mul_f64 v[18:19], v[4:5], v[18:19]
	v_fma_f64 v[48:49], v[48:49], v[12:13], v[28:29]
	v_fma_f64 v[112:113], v[50:51], v[12:13], -v[14:15]
	ds_read_b128 v[12:15], v126 offset:9792
	v_add_f64 v[28:29], v[30:31], v[108:109]
	v_add_f64 v[30:31], v[44:45], v[110:111]
	v_fma_f64 v[114:115], v[4:5], v[16:17], v[46:47]
	s_waitcnt vmcnt(11) lgkmcnt(1)
	v_mul_f64 v[44:45], v[10:11], v[22:23]
	v_fma_f64 v[116:117], v[6:7], v[16:17], -v[18:19]
	v_mul_f64 v[18:19], v[8:9], v[22:23]
	ds_read_b128 v[4:7], v126 offset:11424
	v_add_f64 v[16:17], v[28:29], v[48:49]
	v_add_f64 v[22:23], v[30:31], v[112:113]
	s_waitcnt vmcnt(10) lgkmcnt(1)
	v_mul_f64 v[28:29], v[14:15], v[26:27]
	v_mul_f64 v[26:27], v[12:13], v[26:27]
	v_fma_f64 v[46:47], v[8:9], v[20:21], v[44:45]
	v_fma_f64 v[44:45], v[10:11], v[20:21], -v[18:19]
	ds_read_b128 v[8:11], v126 offset:13056
	s_waitcnt vmcnt(9) lgkmcnt(1)
	v_mul_f64 v[20:21], v[6:7], v[34:35]
	v_add_f64 v[16:17], v[16:17], v[114:115]
	v_add_f64 v[18:19], v[22:23], v[116:117]
	v_fma_f64 v[30:31], v[12:13], v[24:25], v[28:29]
	v_fma_f64 v[50:51], v[14:15], v[24:25], -v[26:27]
	v_mul_f64 v[22:23], v[4:5], v[34:35]
	s_waitcnt vmcnt(8) lgkmcnt(0)
	v_mul_f64 v[24:25], v[10:11], v[38:39]
	v_mul_f64 v[26:27], v[8:9], v[38:39]
	v_fma_f64 v[28:29], v[4:5], v[32:33], v[20:21]
	ds_read_b128 v[12:15], v126 offset:14688
	v_add_f64 v[16:17], v[16:17], v[46:47]
	v_add_f64 v[18:19], v[18:19], v[44:45]
	v_fma_f64 v[34:35], v[6:7], v[32:33], -v[22:23]
	v_fma_f64 v[24:25], v[8:9], v[36:37], v[24:25]
	s_waitcnt vmcnt(7) lgkmcnt(0)
	v_mul_f64 v[56:57], v[14:15], v[42:43]
	v_fma_f64 v[32:33], v[10:11], v[36:37], -v[26:27]
	v_mul_f64 v[42:43], v[12:13], v[42:43]
	v_add_f64 v[20:21], v[16:17], v[30:31]
	v_add_f64 v[22:23], v[18:19], v[50:51]
	ds_read_b128 v[4:7], v126 offset:26112
	ds_read_b128 v[16:19], v126 offset:22848
	;; [unrolled: 1-line block ×7, first 2 shown]
	s_waitcnt vmcnt(0) lgkmcnt(0)
	s_barrier
	v_fma_f64 v[26:27], v[12:13], v[40:41], v[56:57]
	buffer_gl0_inv
	v_fma_f64 v[58:59], v[14:15], v[40:41], -v[42:43]
	v_mul_f64 v[68:69], v[4:5], v[54:55]
	v_mul_f64 v[54:55], v[6:7], v[54:55]
	;; [unrolled: 1-line block ×3, first 2 shown]
	v_add_f64 v[20:21], v[20:21], v[28:29]
	v_add_f64 v[22:23], v[22:23], v[34:35]
	v_mul_f64 v[118:119], v[98:99], v[78:79]
	v_mul_f64 v[62:63], v[66:67], v[62:63]
	;; [unrolled: 1-line block ×11, first 2 shown]
	v_fma_f64 v[56:57], v[66:67], v[60:61], -v[70:71]
	v_add_f64 v[82:83], v[20:21], v[24:25]
	v_add_f64 v[14:15], v[22:23], v[32:33]
	v_fma_f64 v[20:21], v[6:7], v[52:53], -v[68:69]
	v_fma_f64 v[22:23], v[4:5], v[52:53], v[54:55]
	v_fma_f64 v[66:67], v[64:65], v[60:61], v[62:63]
	;; [unrolled: 1-line block ×4, first 2 shown]
	v_fma_f64 v[70:71], v[18:19], v[80:81], -v[12:13]
	v_fma_f64 v[62:63], v[98:99], v[76:77], -v[78:79]
	v_fma_f64 v[78:79], v[8:9], v[84:85], v[40:41]
	v_fma_f64 v[80:81], v[10:11], v[84:85], -v[42:43]
	v_fma_f64 v[84:85], v[38:39], v[88:89], -v[86:87]
	v_fma_f64 v[60:61], v[100:101], v[92:93], v[122:123]
	v_fma_f64 v[86:87], v[36:37], v[88:89], v[90:91]
	v_fma_f64 v[88:89], v[102:103], v[92:93], -v[94:95]
	v_add_f64 v[12:13], v[110:111], v[56:57]
	v_add_f64 v[52:53], v[82:83], v[26:27]
	;; [unrolled: 1-line block ×3, first 2 shown]
	v_add_f64 v[90:91], v[106:107], -v[20:21]
	v_add_f64 v[92:93], v[106:107], v[20:21]
	v_add_f64 v[82:83], v[104:105], v[22:23]
	v_add_f64 v[76:77], v[104:105], -v[22:23]
	v_add_f64 v[14:15], v[110:111], -v[56:57]
	v_add_f64 v[6:7], v[108:109], v[66:67]
	v_add_f64 v[4:5], v[108:109], -v[66:67]
	v_add_f64 v[10:11], v[48:49], v[68:69]
	;; [unrolled: 2-line block ×4, first 2 shown]
	v_add_f64 v[48:49], v[50:51], v[88:89]
	v_add_f64 v[50:51], v[50:51], -v[88:89]
	v_add_f64 v[36:37], v[114:115], -v[78:79]
	v_add_f64 v[40:41], v[116:117], v[80:81]
	v_add_f64 v[42:43], v[116:117], -v[80:81]
	v_mul_f64 v[138:139], v[12:13], s[18:19]
	v_add_f64 v[94:95], v[52:53], v[64:65]
	v_add_f64 v[96:97], v[54:55], v[62:63]
	v_mul_f64 v[106:107], v[90:91], s[38:39]
	v_mul_f64 v[108:109], v[92:93], s[40:41]
	;; [unrolled: 1-line block ×3, first 2 shown]
	v_add_f64 v[54:55], v[44:45], -v[84:85]
	v_mul_f64 v[136:137], v[14:15], s[22:23]
	v_add_f64 v[52:53], v[44:45], v[84:85]
	v_add_f64 v[44:45], v[46:47], v[86:87]
	v_add_f64 v[46:47], v[46:47], -v[86:87]
	v_mul_f64 v[112:113], v[90:91], s[12:13]
	v_mul_f64 v[114:115], v[90:91], s[6:7]
	;; [unrolled: 1-line block ×12, first 2 shown]
	v_add_f64 v[94:95], v[94:95], v[60:61]
	v_add_f64 v[88:89], v[96:97], v[88:89]
	v_fma_f64 v[140:141], v[82:83], s[40:41], v[106:107]
	v_fma_f64 v[144:145], v[76:77], s[48:49], v[108:109]
	;; [unrolled: 1-line block ×3, first 2 shown]
	v_mul_f64 v[130:131], v[92:93], s[14:15]
	v_fma_f64 v[158:159], v[6:7], s[18:19], v[136:137]
	v_mul_f64 v[132:133], v[92:93], s[36:37]
	v_mul_f64 v[134:135], v[92:93], s[50:51]
	;; [unrolled: 1-line block ×7, first 2 shown]
	v_fma_f64 v[156:157], v[82:83], s[4:5], v[114:115]
	v_fma_f64 v[114:115], v[82:83], s[4:5], -v[114:115]
	v_fma_f64 v[162:163], v[82:83], s[14:15], v[116:117]
	v_fma_f64 v[116:117], v[82:83], s[14:15], -v[116:117]
	;; [unrolled: 2-line block ×4, first 2 shown]
	v_add_f64 v[86:87], v[94:95], v[86:87]
	v_add_f64 v[84:85], v[88:89], v[84:85]
	v_fma_f64 v[94:95], v[82:83], s[18:19], v[110:111]
	v_add_f64 v[140:141], v[0:1], v[140:141]
	v_add_f64 v[144:145], v[2:3], v[144:145]
	v_fma_f64 v[88:89], v[82:83], s[40:41], -v[106:107]
	v_fma_f64 v[106:107], v[82:83], s[18:19], -v[110:111]
	v_fma_f64 v[110:111], v[82:83], s[10:11], v[112:113]
	v_fma_f64 v[112:113], v[82:83], s[10:11], -v[112:113]
	v_fma_f64 v[170:171], v[82:83], s[34:35], v[90:91]
	;; [unrolled: 2-line block ×3, first 2 shown]
	v_fma_f64 v[90:91], v[76:77], s[30:31], v[124:125]
	v_fma_f64 v[108:109], v[76:77], s[12:13], v[124:125]
	;; [unrolled: 1-line block ×5, first 2 shown]
	v_mul_f64 v[96:97], v[54:55], s[0:1]
	v_mul_f64 v[98:99], v[52:53], s[14:15]
	;; [unrolled: 1-line block ×4, first 2 shown]
	v_fma_f64 v[174:175], v[76:77], s[52:53], v[134:135]
	v_add_f64 v[78:79], v[86:87], v[78:79]
	v_add_f64 v[80:81], v[84:85], v[80:81]
	v_fma_f64 v[84:85], v[76:77], s[20:21], v[122:123]
	v_fma_f64 v[86:87], v[76:77], s[22:23], v[122:123]
	;; [unrolled: 1-line block ×3, first 2 shown]
	v_add_f64 v[128:129], v[158:159], v[140:141]
	v_fma_f64 v[140:141], v[8:9], s[30:31], v[104:105]
	v_add_f64 v[144:145], v[160:161], v[144:145]
	v_add_f64 v[94:95], v[0:1], v[94:95]
	v_fma_f64 v[158:159], v[76:77], s[28:29], v[130:131]
	v_fma_f64 v[130:131], v[76:77], s[0:1], v[130:131]
	;; [unrolled: 1-line block ×9, first 2 shown]
	v_add_f64 v[182:183], v[0:1], v[88:89]
	v_add_f64 v[184:185], v[2:3], v[82:83]
	;; [unrolled: 1-line block ×6, first 2 shown]
	v_fma_f64 v[78:79], v[36:37], s[24:25], v[100:101]
	v_fma_f64 v[80:81], v[4:5], s[24:25], v[148:149]
	v_add_f64 v[82:83], v[2:3], v[84:85]
	v_add_f64 v[84:85], v[124:125], v[128:129]
	;; [unrolled: 1-line block ×10, first 2 shown]
	v_mul_f64 v[158:159], v[14:15], s[16:17]
	v_mul_f64 v[162:163], v[12:13], s[36:37]
	;; [unrolled: 1-line block ×4, first 2 shown]
	v_add_f64 v[116:117], v[0:1], v[164:165]
	v_mul_f64 v[164:165], v[54:55], s[52:53]
	v_add_f64 v[140:141], v[2:3], v[86:87]
	v_add_f64 v[86:87], v[0:1], v[110:111]
	;; [unrolled: 1-line block ×5, first 2 shown]
	v_add_f64 v[60:61], v[30:31], -v[60:61]
	v_fma_f64 v[70:71], v[44:45], s[14:15], v[96:97]
	v_add_f64 v[30:31], v[76:77], v[84:85]
	v_add_f64 v[68:69], v[34:35], -v[62:63]
	v_add_f64 v[76:77], v[78:79], v[88:89]
	v_fma_f64 v[78:79], v[46:47], s[28:29], v[98:99]
	v_add_f64 v[66:67], v[34:35], v[62:63]
	v_add_f64 v[34:35], v[80:81], v[82:83]
	;; [unrolled: 1-line block ×3, first 2 shown]
	v_fma_f64 v[82:83], v[8:9], s[46:47], v[152:153]
	v_fma_f64 v[84:85], v[38:39], s[34:35], v[154:155]
	v_add_f64 v[90:91], v[2:3], v[90:91]
	v_add_f64 v[188:189], v[2:3], v[120:121]
	;; [unrolled: 1-line block ×3, first 2 shown]
	v_mul_f64 v[130:131], v[40:41], s[34:35]
	v_add_f64 v[120:121], v[2:3], v[160:161]
	v_add_f64 v[110:111], v[2:3], v[132:133]
	v_fma_f64 v[92:93], v[6:7], s[36:37], v[158:159]
	v_fma_f64 v[132:133], v[4:5], s[46:47], v[162:163]
	v_mul_f64 v[160:161], v[18:19], s[42:43]
	v_add_f64 v[88:89], v[0:1], v[166:167]
	v_fma_f64 v[166:167], v[56:57], s[36:37], v[192:193]
	v_fma_f64 v[198:199], v[60:61], s[46:47], v[194:195]
	v_add_f64 v[62:63], v[28:29], v[64:65]
	v_add_f64 v[30:31], v[70:71], v[30:31]
	v_mul_f64 v[200:201], v[68:69], s[44:45]
	v_add_f64 v[64:65], v[28:29], -v[64:65]
	v_add_f64 v[78:79], v[78:79], v[76:77]
	v_add_f64 v[70:71], v[32:33], -v[58:59]
	v_mul_f64 v[28:29], v[66:67], s[50:51]
	v_add_f64 v[76:77], v[32:33], v[58:59]
	v_add_f64 v[32:33], v[82:83], v[34:35]
	v_add_f64 v[34:35], v[84:85], v[80:81]
	v_fma_f64 v[204:205], v[44:45], s[50:51], v[164:165]
	v_mul_f64 v[196:197], v[16:17], s[34:35]
	v_mul_f64 v[206:207], v[52:53], s[50:51]
	v_fma_f64 v[202:203], v[36:37], s[42:43], v[130:131]
	v_add_f64 v[94:95], v[2:3], v[174:175]
	v_mul_f64 v[174:175], v[50:51], s[28:29]
	v_add_f64 v[92:93], v[92:93], v[86:87]
	v_add_f64 v[90:91], v[132:133], v[90:91]
	v_fma_f64 v[132:133], v[10:11], s[34:35], v[160:161]
	v_mul_f64 v[210:211], v[42:43], s[28:29]
	v_add_f64 v[80:81], v[2:3], v[134:135]
	v_add_f64 v[58:59], v[24:25], v[26:27]
	v_fma_f64 v[136:137], v[6:7], s[18:19], -v[136:137]
	v_add_f64 v[30:31], v[166:167], v[30:31]
	v_fma_f64 v[166:167], v[62:63], s[50:51], v[200:201]
	v_add_f64 v[82:83], v[0:1], v[168:169]
	v_add_f64 v[134:135], v[198:199], v[78:79]
	v_mul_f64 v[84:85], v[70:71], s[26:27]
	v_fma_f64 v[198:199], v[64:65], s[52:53], v[28:29]
	v_add_f64 v[78:79], v[24:25], -v[26:27]
	v_mul_f64 v[86:87], v[76:77], s[34:35]
	v_mul_f64 v[168:169], v[40:41], s[14:15]
	v_add_f64 v[26:27], v[204:205], v[34:35]
	v_fma_f64 v[34:35], v[4:5], s[22:23], v[138:139]
	v_fma_f64 v[208:209], v[8:9], s[26:27], v[196:197]
	v_add_f64 v[24:25], v[202:203], v[32:33]
	v_fma_f64 v[32:33], v[46:47], s[44:45], v[206:207]
	v_fma_f64 v[138:139], v[56:57], s[14:15], v[174:175]
	v_mul_f64 v[214:215], v[54:55], s[20:21]
	v_fma_f64 v[142:143], v[10:11], s[10:11], -v[142:143]
	v_add_f64 v[132:133], v[132:133], v[92:93]
	v_fma_f64 v[212:213], v[38:39], s[14:15], v[210:211]
	v_add_f64 v[92:93], v[0:1], v[170:171]
	v_fma_f64 v[146:147], v[6:7], s[4:5], -v[146:147]
	v_add_f64 v[136:137], v[136:137], v[182:183]
	v_fma_f64 v[104:105], v[8:9], s[12:13], v[104:105]
	v_add_f64 v[30:31], v[166:167], v[30:31]
	v_fma_f64 v[148:149], v[4:5], s[6:7], v[148:149]
	v_mul_f64 v[204:205], v[68:69], s[30:31]
	v_fma_f64 v[166:167], v[58:59], s[34:35], v[84:85]
	v_add_f64 v[134:135], v[198:199], v[134:135]
	v_mul_f64 v[202:203], v[48:49], s[14:15]
	v_fma_f64 v[170:171], v[78:79], s[42:43], v[86:87]
	v_fma_f64 v[216:217], v[36:37], s[0:1], v[168:169]
	v_mul_f64 v[218:219], v[52:53], s[18:19]
	v_add_f64 v[34:35], v[34:35], v[184:185]
	v_add_f64 v[208:209], v[208:209], v[90:91]
	;; [unrolled: 1-line block ×6, first 2 shown]
	v_fma_f64 v[180:181], v[44:45], s[18:19], v[214:215]
	v_mul_f64 v[198:199], v[50:51], s[38:39]
	v_add_f64 v[132:133], v[212:213], v[132:133]
	v_add_f64 v[24:25], v[178:179], v[22:23]
	;; [unrolled: 1-line block ×4, first 2 shown]
	v_mul_f64 v[178:179], v[14:15], s[26:27]
	v_add_f64 v[156:157], v[0:1], v[156:157]
	v_add_f64 v[118:119], v[0:1], v[118:119]
	v_fma_f64 v[176:177], v[62:63], s[10:11], v[204:205]
	v_add_f64 v[20:21], v[166:167], v[30:31]
	v_add_f64 v[30:31], v[142:143], v[136:137]
	v_fma_f64 v[142:143], v[10:11], s[36:37], -v[150:151]
	v_add_f64 v[22:23], v[170:171], v[134:135]
	v_fma_f64 v[134:135], v[6:7], s[36:37], -v[158:159]
	v_fma_f64 v[136:137], v[38:39], s[4:5], -v[102:103]
	v_add_f64 v[34:35], v[104:105], v[34:35]
	v_add_f64 v[104:105], v[148:149], v[140:141]
	v_fma_f64 v[140:141], v[8:9], s[16:17], v[152:153]
	v_add_f64 v[0:1], v[0:1], v[172:173]
	v_fma_f64 v[172:173], v[60:61], s[0:1], v[202:203]
	;; [unrolled: 2-line block ×3, first 2 shown]
	v_mul_f64 v[208:209], v[48:49], s[40:41]
	v_mul_f64 v[166:167], v[66:67], s[10:11]
	v_add_f64 v[132:133], v[180:181], v[132:133]
	v_fma_f64 v[146:147], v[4:5], s[16:17], v[162:163]
	v_fma_f64 v[150:151], v[56:57], s[40:41], v[198:199]
	v_mul_f64 v[158:159], v[68:69], s[6:7]
	v_mul_f64 v[170:171], v[12:13], s[34:35]
	v_fma_f64 v[130:131], v[36:37], s[26:27], v[130:131]
	v_fma_f64 v[100:101], v[36:37], s[6:7], v[100:101]
	v_add_f64 v[138:139], v[176:177], v[138:139]
	v_fma_f64 v[176:177], v[6:7], s[34:35], v[178:179]
	v_add_f64 v[128:129], v[142:143], v[128:129]
	v_fma_f64 v[142:143], v[10:11], s[34:35], -v[160:161]
	v_add_f64 v[134:135], v[134:135], v[144:145]
	v_mul_f64 v[180:181], v[18:19], s[28:29]
	v_add_f64 v[30:31], v[136:137], v[30:31]
	v_fma_f64 v[136:137], v[38:39], s[34:35], -v[154:155]
	v_add_f64 v[140:141], v[140:141], v[104:105]
	v_mul_f64 v[162:163], v[66:67], s[4:5]
	v_add_f64 v[32:33], v[172:173], v[32:33]
	v_mul_f64 v[102:103], v[70:71], s[48:49]
	v_add_f64 v[148:149], v[184:185], v[182:183]
	v_fma_f64 v[152:153], v[60:61], s[48:49], v[208:209]
	v_fma_f64 v[172:173], v[64:65], s[12:13], v[166:167]
	v_fma_f64 v[96:97], v[44:45], s[14:15], -v[96:97]
	v_fma_f64 v[144:145], v[46:47], s[0:1], v[98:99]
	v_mul_f64 v[98:99], v[76:77], s[40:41]
	v_add_f64 v[146:147], v[146:147], v[186:187]
	v_fma_f64 v[154:155], v[8:9], s[42:43], v[196:197]
	v_add_f64 v[132:133], v[150:151], v[132:133]
	v_fma_f64 v[150:151], v[62:63], s[4:5], v[158:159]
	v_fma_f64 v[160:161], v[4:5], s[42:43], v[170:171]
	v_mul_f64 v[182:183], v[16:17], s[14:15]
	v_mul_f64 v[104:105], v[70:71], s[44:45]
	v_add_f64 v[34:35], v[100:101], v[34:35]
	v_add_f64 v[134:135], v[142:143], v[134:135]
	v_fma_f64 v[142:143], v[38:39], s[14:15], -v[210:211]
	v_add_f64 v[156:157], v[176:177], v[156:157]
	v_fma_f64 v[176:177], v[10:11], s[14:15], v[180:181]
	v_add_f64 v[130:131], v[130:131], v[140:141]
	v_fma_f64 v[140:141], v[46:47], s[52:53], v[206:207]
	v_mul_f64 v[184:185], v[42:43], s[48:49]
	v_add_f64 v[128:129], v[136:137], v[128:129]
	v_fma_f64 v[136:137], v[44:45], s[50:51], -v[164:165]
	v_add_f64 v[148:149], v[152:153], v[148:149]
	v_fma_f64 v[152:153], v[64:65], s[24:25], v[162:163]
	v_mul_f64 v[100:101], v[76:77], s[50:51]
	v_add_f64 v[30:31], v[96:97], v[30:31]
	v_fma_f64 v[96:97], v[56:57], s[36:37], -v[192:193]
	v_add_f64 v[32:33], v[172:173], v[32:33]
	v_add_f64 v[146:147], v[154:155], v[146:147]
	v_fma_f64 v[154:155], v[36:37], s[28:29], v[168:169]
	v_fma_f64 v[164:165], v[58:59], s[40:41], v[102:103]
	;; [unrolled: 1-line block ×3, first 2 shown]
	v_add_f64 v[160:161], v[160:161], v[188:189]
	v_fma_f64 v[172:173], v[8:9], s[0:1], v[182:183]
	v_mul_f64 v[186:187], v[40:41], s[40:41]
	v_add_f64 v[132:133], v[150:151], v[132:133]
	v_add_f64 v[134:135], v[142:143], v[134:135]
	v_fma_f64 v[142:143], v[44:45], s[18:19], -v[214:215]
	v_fma_f64 v[150:151], v[58:59], s[50:51], v[104:105]
	v_add_f64 v[34:35], v[144:145], v[34:35]
	v_add_f64 v[130:131], v[140:141], v[130:131]
	v_fma_f64 v[140:141], v[60:61], s[28:29], v[202:203]
	v_fma_f64 v[144:145], v[60:61], s[16:17], v[194:195]
	v_add_f64 v[156:157], v[176:177], v[156:157]
	v_fma_f64 v[176:177], v[38:39], s[40:41], v[184:185]
	v_mul_f64 v[188:189], v[54:55], s[12:13]
	v_add_f64 v[128:129], v[136:137], v[128:129]
	v_fma_f64 v[136:137], v[56:57], s[14:15], -v[174:175]
	v_add_f64 v[148:149], v[152:153], v[148:149]
	v_fma_f64 v[152:153], v[78:79], s[52:53], v[100:101]
	v_add_f64 v[96:97], v[96:97], v[30:31]
	v_add_f64 v[146:147], v[154:155], v[146:147]
	v_fma_f64 v[154:155], v[46:47], s[20:21], v[218:219]
	v_fma_f64 v[190:191], v[64:65], s[44:45], v[28:29]
	v_mul_f64 v[192:193], v[14:15], s[52:53]
	v_add_f64 v[160:161], v[172:173], v[160:161]
	v_fma_f64 v[172:173], v[36:37], s[38:39], v[186:187]
	v_mul_f64 v[194:195], v[52:53], s[10:11]
	v_add_f64 v[28:29], v[164:165], v[138:139]
	v_mul_f64 v[138:139], v[12:13], s[50:51]
	v_add_f64 v[134:135], v[142:143], v[134:135]
	v_fma_f64 v[142:143], v[56:57], s[40:41], -v[198:199]
	v_add_f64 v[30:31], v[168:169], v[32:33]
	v_add_f64 v[32:33], v[150:151], v[132:133]
	v_fma_f64 v[132:133], v[6:7], s[34:35], -v[178:179]
	v_add_f64 v[130:131], v[140:141], v[130:131]
	v_fma_f64 v[140:141], v[64:65], s[30:31], v[166:167]
	v_add_f64 v[144:145], v[144:145], v[34:35]
	v_fma_f64 v[174:175], v[62:63], s[50:51], -v[200:201]
	v_add_f64 v[156:157], v[176:177], v[156:157]
	v_fma_f64 v[176:177], v[44:45], s[10:11], v[188:189]
	v_mul_f64 v[196:197], v[50:51], s[44:45]
	v_add_f64 v[128:129], v[136:137], v[128:129]
	v_fma_f64 v[136:137], v[62:63], s[10:11], -v[204:205]
	v_add_f64 v[34:35], v[152:153], v[148:149]
	v_add_f64 v[146:147], v[154:155], v[146:147]
	v_fma_f64 v[148:149], v[60:61], s[38:39], v[208:209]
	v_fma_f64 v[152:153], v[6:7], s[50:51], v[192:193]
	v_mul_f64 v[154:155], v[18:19], s[20:21]
	v_add_f64 v[160:161], v[172:173], v[160:161]
	v_fma_f64 v[164:165], v[46:47], s[30:31], v[194:195]
	v_fma_f64 v[168:169], v[4:5], s[44:45], v[138:139]
	v_mul_f64 v[172:173], v[16:17], s[18:19]
	v_add_f64 v[134:135], v[142:143], v[134:135]
	v_fma_f64 v[142:143], v[4:5], s[26:27], v[170:171]
	v_fma_f64 v[170:171], v[6:7], s[50:51], -v[192:193]
	v_add_f64 v[132:133], v[132:133], v[112:113]
	v_mul_f64 v[166:167], v[48:49], s[50:51]
	v_add_f64 v[112:113], v[140:141], v[130:131]
	v_fma_f64 v[130:131], v[4:5], s[52:53], v[138:139]
	v_add_f64 v[150:151], v[174:175], v[96:97]
	v_add_f64 v[96:97], v[190:191], v[144:145]
	;; [unrolled: 1-line block ×3, first 2 shown]
	v_fma_f64 v[156:157], v[56:57], s[50:51], v[196:197]
	v_fma_f64 v[174:175], v[10:11], s[14:15], -v[180:181]
	v_add_f64 v[128:129], v[136:137], v[128:129]
	v_mul_f64 v[136:137], v[68:69], s[46:47]
	v_fma_f64 v[140:141], v[64:65], s[6:7], v[162:163]
	v_add_f64 v[138:139], v[148:149], v[146:147]
	v_add_f64 v[122:123], v[152:153], v[122:123]
	v_fma_f64 v[146:147], v[10:11], s[18:19], v[154:155]
	v_mul_f64 v[148:149], v[42:43], s[12:13]
	v_add_f64 v[152:153], v[164:165], v[160:161]
	v_mul_f64 v[160:161], v[14:15], s[28:29]
	v_mul_f64 v[162:163], v[12:13], s[14:15]
	v_add_f64 v[114:115], v[168:169], v[114:115]
	v_fma_f64 v[164:165], v[8:9], s[22:23], v[172:173]
	v_mul_f64 v[168:169], v[40:41], s[10:11]
	v_add_f64 v[108:109], v[170:171], v[108:109]
	v_fma_f64 v[154:155], v[10:11], s[18:19], -v[154:155]
	v_fma_f64 v[158:159], v[62:63], s[4:5], -v[158:159]
	v_add_f64 v[124:125], v[130:131], v[124:125]
	v_fma_f64 v[130:131], v[8:9], s[20:21], v[172:173]
	v_mul_f64 v[178:179], v[66:67], s[36:37]
	v_add_f64 v[142:143], v[142:143], v[106:107]
	v_add_f64 v[144:145], v[156:157], v[144:145]
	v_fma_f64 v[156:157], v[60:61], s[52:53], v[166:167]
	v_fma_f64 v[180:181], v[8:9], s[28:29], v[182:183]
	;; [unrolled: 1-line block ×3, first 2 shown]
	v_add_f64 v[132:133], v[174:175], v[132:133]
	v_fma_f64 v[170:171], v[38:39], s[40:41], -v[184:185]
	v_add_f64 v[106:107], v[140:141], v[138:139]
	v_add_f64 v[122:123], v[146:147], v[122:123]
	v_fma_f64 v[138:139], v[38:39], s[10:11], v[148:149]
	v_mul_f64 v[140:141], v[54:55], s[26:27]
	v_fma_f64 v[146:147], v[6:7], s[14:15], v[160:161]
	v_mul_f64 v[172:173], v[18:19], s[38:39]
	v_mul_f64 v[174:175], v[16:17], s[40:41]
	v_add_f64 v[114:115], v[164:165], v[114:115]
	v_mul_f64 v[164:165], v[52:53], s[34:35]
	v_fma_f64 v[160:161], v[6:7], s[14:15], -v[160:161]
	v_add_f64 v[108:109], v[154:155], v[108:109]
	v_fma_f64 v[148:149], v[38:39], s[10:11], -v[148:149]
	v_fma_f64 v[154:155], v[4:5], s[28:29], v[162:163]
	v_add_f64 v[124:125], v[130:131], v[124:125]
	v_fma_f64 v[130:131], v[36:37], s[12:13], v[168:169]
	v_add_f64 v[134:135], v[158:159], v[134:135]
	;; [unrolled: 2-line block ×5, first 2 shown]
	v_add_f64 v[132:133], v[170:171], v[132:133]
	v_fma_f64 v[162:163], v[36:37], s[48:49], v[186:187]
	v_fma_f64 v[168:169], v[44:45], s[10:11], -v[188:189]
	v_add_f64 v[122:123], v[138:139], v[122:123]
	v_fma_f64 v[138:139], v[44:45], s[34:35], v[140:141]
	v_add_f64 v[116:117], v[146:147], v[116:117]
	v_fma_f64 v[146:147], v[10:11], s[40:41], v[172:173]
	v_mul_f64 v[180:181], v[40:41], s[50:51]
	v_fma_f64 v[140:141], v[44:45], s[34:35], -v[140:141]
	v_add_f64 v[118:119], v[160:161], v[118:119]
	v_fma_f64 v[160:161], v[10:11], s[40:41], -v[172:173]
	v_mul_f64 v[172:173], v[50:51], s[24:25]
	v_add_f64 v[108:109], v[148:149], v[108:109]
	v_add_f64 v[110:111], v[154:155], v[110:111]
	v_fma_f64 v[148:149], v[8:9], s[38:39], v[174:175]
	v_add_f64 v[124:125], v[130:131], v[124:125]
	v_fma_f64 v[130:131], v[46:47], s[26:27], v[164:165]
	;; [unrolled: 2-line block ×4, first 2 shown]
	v_add_f64 v[152:153], v[176:177], v[152:153]
	v_mul_f64 v[176:177], v[48:49], s[4:5]
	v_mul_f64 v[170:171], v[42:43], s[44:45]
	v_add_f64 v[142:143], v[162:163], v[142:143]
	v_add_f64 v[132:133], v[168:169], v[132:133]
	v_fma_f64 v[154:155], v[46:47], s[12:13], v[194:195]
	v_fma_f64 v[162:163], v[56:57], s[50:51], -v[196:197]
	v_mul_f64 v[164:165], v[52:53], s[4:5]
	v_add_f64 v[122:123], v[138:139], v[122:123]
	v_add_f64 v[116:117], v[146:147], v[116:117]
	v_fma_f64 v[146:147], v[36:37], s[52:53], v[180:181]
	v_add_f64 v[118:119], v[160:161], v[118:119]
	v_fma_f64 v[160:161], v[56:57], s[4:5], v[172:173]
	;; [unrolled: 2-line block ×3, first 2 shown]
	v_add_f64 v[110:111], v[148:149], v[110:111]
	v_mul_f64 v[174:175], v[66:67], s[40:41]
	v_add_f64 v[124:125], v[130:131], v[124:125]
	v_fma_f64 v[130:131], v[56:57], s[4:5], -v[172:173]
	v_mul_f64 v[172:173], v[14:15], s[30:31]
	v_add_f64 v[120:121], v[158:159], v[120:121]
	v_add_f64 v[114:115], v[156:157], v[114:115]
	v_mul_f64 v[158:159], v[54:55], s[24:25]
	v_fma_f64 v[168:169], v[60:61], s[6:7], v[176:177]
	v_fma_f64 v[138:139], v[38:39], s[50:51], v[170:171]
	v_fma_f64 v[156:157], v[38:39], s[50:51], -v[170:171]
	v_mul_f64 v[170:171], v[68:69], s[38:39]
	v_fma_f64 v[148:149], v[60:61], s[24:25], v[176:177]
	v_mul_f64 v[176:177], v[12:13], s[10:11]
	v_add_f64 v[142:143], v[154:155], v[142:143]
	v_add_f64 v[132:133], v[162:163], v[132:133]
	v_fma_f64 v[154:155], v[60:61], s[44:45], v[166:167]
	v_mul_f64 v[166:167], v[48:49], s[18:19]
	v_fma_f64 v[136:137], v[62:63], s[36:37], -v[136:137]
	v_mul_f64 v[14:15], v[14:15], s[48:49]
	v_add_f64 v[122:123], v[160:161], v[122:123]
	v_mul_f64 v[12:13], v[12:13], s[40:41]
	v_add_f64 v[110:111], v[140:141], v[110:111]
	v_fma_f64 v[140:141], v[46:47], s[24:25], v[164:165]
	v_fma_f64 v[160:161], v[64:65], s[48:49], v[174:175]
	v_add_f64 v[108:109], v[130:131], v[108:109]
	v_fma_f64 v[130:131], v[6:7], s[10:11], v[172:173]
	v_add_f64 v[120:121], v[146:147], v[120:121]
	v_fma_f64 v[146:147], v[46:47], s[6:7], v[164:165]
	v_fma_f64 v[174:175], v[64:65], s[38:39], v[174:175]
	v_add_f64 v[114:115], v[168:169], v[114:115]
	v_add_f64 v[116:117], v[138:139], v[116:117]
	v_fma_f64 v[138:139], v[44:45], s[4:5], v[158:159]
	v_add_f64 v[118:119], v[156:157], v[118:119]
	v_fma_f64 v[156:157], v[44:45], s[4:5], -v[158:159]
	v_fma_f64 v[158:159], v[62:63], s[40:41], v[170:171]
	v_add_f64 v[124:125], v[148:149], v[124:125]
	v_fma_f64 v[148:149], v[4:5], s[12:13], v[176:177]
	v_fma_f64 v[164:165], v[62:63], s[40:41], -v[170:171]
	v_mul_f64 v[168:169], v[18:19], s[6:7]
	v_mul_f64 v[170:171], v[16:17], s[4:5]
	v_add_f64 v[142:143], v[154:155], v[142:143]
	v_fma_f64 v[154:155], v[6:7], s[10:11], -v[172:173]
	v_add_f64 v[132:133], v[136:137], v[132:133]
	v_fma_f64 v[136:137], v[60:61], s[22:23], v[166:167]
	v_add_f64 v[110:111], v[140:141], v[110:111]
	v_fma_f64 v[140:141], v[4:5], s[30:31], v[176:177]
	v_mul_f64 v[18:19], v[18:19], s[44:45]
	v_add_f64 v[88:89], v[130:131], v[88:89]
	v_fma_f64 v[130:131], v[6:7], s[40:41], v[14:15]
	v_add_f64 v[120:121], v[146:147], v[120:121]
	v_fma_f64 v[146:147], v[60:61], s[20:21], v[166:167]
	;; [unrolled: 2-line block ×3, first 2 shown]
	v_mul_f64 v[16:17], v[16:17], s[50:51]
	v_fma_f64 v[6:7], v[6:7], s[40:41], -v[14:15]
	v_fma_f64 v[4:5], v[4:5], s[48:49], v[12:13]
	v_mul_f64 v[162:163], v[50:51], s[22:23]
	v_add_f64 v[122:123], v[158:159], v[122:123]
	v_add_f64 v[94:95], v[148:149], v[94:95]
	;; [unrolled: 1-line block ×3, first 2 shown]
	v_fma_f64 v[148:149], v[10:11], s[4:5], v[168:169]
	v_fma_f64 v[158:159], v[8:9], s[24:25], v[170:171]
	v_fma_f64 v[124:125], v[10:11], s[4:5], -v[168:169]
	v_add_f64 v[82:83], v[154:155], v[82:83]
	v_mul_f64 v[12:13], v[42:43], s[46:47]
	v_fma_f64 v[102:103], v[58:59], s[40:41], -v[102:103]
	v_add_f64 v[110:111], v[136:137], v[110:111]
	v_add_f64 v[80:81], v[140:141], v[80:81]
	v_mul_f64 v[136:137], v[40:41], s[36:37]
	v_fma_f64 v[140:141], v[8:9], s[6:7], v[170:171]
	v_add_f64 v[92:93], v[130:131], v[92:93]
	v_fma_f64 v[130:131], v[10:11], s[50:51], v[18:19]
	v_add_f64 v[120:121], v[146:147], v[120:121]
	v_fma_f64 v[10:11], v[10:11], s[50:51], -v[18:19]
	v_add_f64 v[90:91], v[160:161], v[90:91]
	v_fma_f64 v[146:147], v[8:9], s[52:53], v[16:17]
	v_add_f64 v[6:7], v[6:7], v[0:1]
	v_mul_f64 v[18:19], v[42:43], s[20:21]
	v_mul_f64 v[40:41], v[40:41], s[18:19]
	v_fma_f64 v[42:43], v[58:59], s[50:51], -v[104:105]
	v_add_f64 v[2:3], v[4:5], v[2:3]
	v_fma_f64 v[16:17], v[8:9], s[44:45], v[16:17]
	v_add_f64 v[116:117], v[138:139], v[116:117]
	v_fma_f64 v[138:139], v[56:57], s[18:19], v[162:163]
	v_add_f64 v[88:89], v[148:149], v[88:89]
	v_add_f64 v[94:95], v[158:159], v[94:95]
	;; [unrolled: 1-line block ×3, first 2 shown]
	v_fma_f64 v[104:105], v[38:39], s[36:37], v[12:13]
	v_fma_f64 v[12:13], v[38:39], s[36:37], -v[12:13]
	v_add_f64 v[8:9], v[102:103], v[128:129]
	v_fma_f64 v[124:125], v[36:37], s[16:17], v[136:137]
	v_add_f64 v[80:81], v[140:141], v[80:81]
	v_mul_f64 v[140:141], v[54:55], s[38:39]
	v_add_f64 v[92:93], v[130:131], v[92:93]
	v_mul_f64 v[130:131], v[52:53], s[40:41]
	v_fma_f64 v[102:103], v[36:37], s[46:47], v[136:137]
	v_mul_f64 v[54:55], v[54:55], s[16:17]
	v_add_f64 v[90:91], v[146:147], v[90:91]
	v_add_f64 v[6:7], v[10:11], v[6:7]
	v_fma_f64 v[10:11], v[38:39], s[18:19], v[18:19]
	v_fma_f64 v[18:19], v[38:39], s[18:19], -v[18:19]
	v_fma_f64 v[136:137], v[36:37], s[22:23], v[40:41]
	v_add_f64 v[4:5], v[42:43], v[134:135]
	v_mul_f64 v[42:43], v[52:53], s[36:37]
	v_add_f64 v[2:3], v[16:17], v[2:3]
	v_fma_f64 v[36:37], v[36:37], s[20:21], v[40:41]
	v_add_f64 v[116:117], v[138:139], v[116:117]
	v_fma_f64 v[84:85], v[58:59], s[34:35], -v[84:85]
	v_mul_f64 v[138:139], v[70:71], s[20:21]
	v_add_f64 v[52:53], v[104:105], v[88:89]
	v_add_f64 v[12:13], v[12:13], v[82:83]
	v_mul_f64 v[82:83], v[50:51], s[26:27]
	v_add_f64 v[40:41], v[124:125], v[94:95]
	v_mul_f64 v[50:51], v[50:51], s[30:31]
	v_fma_f64 v[88:89], v[44:45], s[40:41], v[140:141]
	v_fma_f64 v[104:105], v[44:45], s[40:41], -v[140:141]
	v_fma_f64 v[94:95], v[46:47], s[48:49], v[130:131]
	v_add_f64 v[80:81], v[102:103], v[80:81]
	v_mul_f64 v[102:103], v[48:49], s[34:35]
	v_fma_f64 v[124:125], v[46:47], s[38:39], v[130:131]
	v_fma_f64 v[130:131], v[44:45], s[36:37], v[54:55]
	v_add_f64 v[10:11], v[10:11], v[92:93]
	v_add_f64 v[6:7], v[18:19], v[6:7]
	;; [unrolled: 1-line block ×3, first 2 shown]
	v_fma_f64 v[44:45], v[44:45], s[36:37], -v[54:55]
	v_fma_f64 v[18:19], v[46:47], s[46:47], v[42:43]
	v_mul_f64 v[48:49], v[48:49], s[10:11]
	v_add_f64 v[2:3], v[36:37], v[2:3]
	v_fma_f64 v[42:43], v[46:47], s[16:17], v[42:43]
	v_add_f64 v[0:1], v[84:85], v[150:151]
	v_fma_f64 v[84:85], v[58:59], s[18:19], v[138:139]
	v_mul_f64 v[36:37], v[68:69], s[26:27]
	v_mul_f64 v[46:47], v[66:67], s[34:35]
	v_add_f64 v[118:119], v[156:157], v[118:119]
	v_fma_f64 v[156:157], v[56:57], s[18:19], -v[162:163]
	v_mul_f64 v[128:129], v[76:77], s[18:19]
	v_add_f64 v[52:53], v[88:89], v[52:53]
	v_add_f64 v[12:13], v[104:105], v[12:13]
	;; [unrolled: 1-line block ×3, first 2 shown]
	v_fma_f64 v[94:95], v[56:57], s[34:35], v[82:83]
	v_fma_f64 v[104:105], v[60:61], s[42:43], v[102:103]
	v_add_f64 v[80:81], v[124:125], v[80:81]
	v_mul_f64 v[124:125], v[68:69], s[20:21]
	v_fma_f64 v[82:83], v[56:57], s[34:35], -v[82:83]
	v_add_f64 v[10:11], v[130:131], v[10:11]
	v_mul_f64 v[130:131], v[66:67], s[18:19]
	v_fma_f64 v[102:103], v[60:61], s[26:27], v[102:103]
	v_add_f64 v[18:19], v[18:19], v[90:91]
	v_fma_f64 v[90:91], v[56:57], s[10:11], v[50:51]
	v_add_f64 v[6:7], v[44:45], v[6:7]
	v_fma_f64 v[44:45], v[60:61], s[12:13], v[48:49]
	v_mul_f64 v[68:69], v[68:69], s[0:1]
	v_fma_f64 v[50:51], v[56:57], s[10:11], -v[50:51]
	v_mul_f64 v[66:67], v[66:67], s[14:15]
	v_add_f64 v[2:3], v[42:43], v[2:3]
	v_fma_f64 v[48:49], v[60:61], s[30:31], v[48:49]
	v_add_f64 v[38:39], v[84:85], v[144:145]
	v_mul_f64 v[84:85], v[70:71], s[16:17]
	v_mul_f64 v[16:17], v[76:77], s[36:37]
	v_fma_f64 v[56:57], v[62:63], s[34:35], v[36:37]
	v_fma_f64 v[42:43], v[64:65], s[42:43], v[46:47]
	v_mul_f64 v[60:61], v[70:71], s[30:31]
	v_add_f64 v[52:53], v[94:95], v[52:53]
	v_mul_f64 v[94:95], v[76:77], s[10:11]
	v_add_f64 v[118:119], v[156:157], v[118:119]
	v_fma_f64 v[36:37], v[62:63], s[34:35], -v[36:37]
	v_add_f64 v[40:41], v[104:105], v[40:41]
	v_fma_f64 v[104:105], v[62:63], s[18:19], v[124:125]
	v_add_f64 v[12:13], v[82:83], v[12:13]
	v_fma_f64 v[82:83], v[64:65], s[22:23], v[130:131]
	v_add_f64 v[80:81], v[102:103], v[80:81]
	v_mul_f64 v[102:103], v[70:71], s[0:1]
	v_add_f64 v[10:11], v[90:91], v[10:11]
	v_mul_f64 v[90:91], v[76:77], s[14:15]
	v_fma_f64 v[130:131], v[64:65], s[20:21], v[130:131]
	v_add_f64 v[18:19], v[44:45], v[18:19]
	v_fma_f64 v[44:45], v[62:63], s[14:15], v[68:69]
	v_mul_f64 v[70:71], v[70:71], s[24:25]
	v_add_f64 v[6:7], v[50:51], v[6:7]
	v_fma_f64 v[50:51], v[64:65], s[28:29], v[66:67]
	v_mul_f64 v[76:77], v[76:77], s[4:5]
	v_fma_f64 v[124:125], v[62:63], s[18:19], -v[124:125]
	v_add_f64 v[2:3], v[48:49], v[2:3]
	v_fma_f64 v[48:49], v[62:63], s[14:15], -v[68:69]
	v_fma_f64 v[62:63], v[64:65], s[0:1], v[66:67]
	v_fma_f64 v[46:47], v[64:65], s[26:27], v[46:47]
	v_fma_f64 v[92:93], v[78:79], s[22:23], v[128:129]
	v_fma_f64 v[134:135], v[64:65], s[46:47], v[178:179]
	v_fma_f64 v[54:55], v[58:59], s[36:37], v[84:85]
	v_fma_f64 v[88:89], v[78:79], s[46:47], v[16:17]
	v_add_f64 v[56:57], v[56:57], v[116:117]
	v_add_f64 v[66:67], v[42:43], v[120:121]
	v_fma_f64 v[68:69], v[58:59], s[10:11], v[60:61]
	v_fma_f64 v[116:117], v[78:79], s[12:13], v[94:95]
	v_add_f64 v[36:37], v[36:37], v[118:119]
	v_add_f64 v[104:105], v[104:105], v[52:53]
	;; [unrolled: 1-line block ×3, first 2 shown]
	v_fma_f64 v[118:119], v[58:59], s[14:15], v[102:103]
	v_fma_f64 v[120:121], v[78:79], s[28:29], v[90:91]
	v_add_f64 v[80:81], v[130:131], v[80:81]
	v_add_f64 v[10:11], v[44:45], v[10:11]
	v_fma_f64 v[130:131], v[58:59], s[4:5], v[70:71]
	v_fma_f64 v[136:137], v[58:59], s[18:19], -v[138:139]
	v_fma_f64 v[64:65], v[78:79], s[16:17], v[16:17]
	v_add_f64 v[18:19], v[50:51], v[18:19]
	v_fma_f64 v[138:139], v[78:79], s[6:7], v[76:77]
	v_add_f64 v[6:7], v[48:49], v[6:7]
	v_add_f64 v[2:3], v[62:63], v[2:3]
	v_fma_f64 v[70:71], v[58:59], s[4:5], -v[70:71]
	v_fma_f64 v[76:77], v[78:79], s[24:25], v[76:77]
	v_fma_f64 v[60:61], v[58:59], s[10:11], -v[60:61]
	v_add_f64 v[124:125], v[124:125], v[12:13]
	v_fma_f64 v[102:103], v[58:59], s[14:15], -v[102:103]
	v_fma_f64 v[90:91], v[78:79], s[0:1], v[90:91]
	v_add_f64 v[110:111], v[46:47], v[110:111]
	v_fma_f64 v[94:95], v[78:79], s[30:31], v[94:95]
	v_add_f64 v[108:109], v[164:165], v[108:109]
	v_fma_f64 v[84:85], v[58:59], s[36:37], -v[84:85]
	v_fma_f64 v[86:87], v[78:79], s[26:27], v[86:87]
	v_fma_f64 v[98:99], v[78:79], s[48:49], v[98:99]
	;; [unrolled: 1-line block ×3, first 2 shown]
	v_add_f64 v[40:41], v[92:93], v[152:153]
	v_add_f64 v[92:93], v[134:135], v[142:143]
	v_fma_f64 v[78:79], v[78:79], s[20:21], v[128:129]
	v_add_f64 v[42:43], v[54:55], v[122:123]
	v_add_f64 v[44:45], v[88:89], v[114:115]
	;; [unrolled: 1-line block ×7, first 2 shown]
	v_mov_b32_e32 v10, 4
	v_mov_b32_e32 v11, 0x1210
	v_add_f64 v[14:15], v[64:65], v[14:15]
	v_add_f64 v[64:65], v[138:139], v[18:19]
	;; [unrolled: 1-line block ×9, first 2 shown]
	v_lshlrev_b32_sdwa v36, v10, v127 dst_sel:DWORD dst_unused:UNUSED_PAD src0_sel:DWORD src1_sel:BYTE_0
	v_mul_u32_u24_sdwa v37, v73, v11 dst_sel:DWORD dst_unused:UNUSED_PAD src0_sel:WORD_0 src1_sel:DWORD
	v_add_f64 v[16:17], v[136:137], v[132:133]
	v_add_f64 v[18:19], v[78:79], v[92:93]
	;; [unrolled: 1-line block ×5, first 2 shown]
	v_add3_u32 v36, 0, v37, v36
	ds_write_b128 v36, v[24:27]
	ds_write_b128 v36, v[20:23] offset:272
	ds_write_b128 v36, v[28:31] offset:544
	;; [unrolled: 1-line block ×16, first 2 shown]
	s_waitcnt lgkmcnt(0)
	s_barrier
	buffer_gl0_inv
	ds_read_b128 v[28:31], v126
	ds_read_b128 v[24:27], v126 offset:1632
	ds_read_b128 v[40:43], v126 offset:4624
	;; [unrolled: 1-line block ×11, first 2 shown]
	v_cmp_gt_u32_e64 s0, 0x55, v72
                                        ; implicit-def: $vgpr22_vgpr23
	s_and_saveexec_b32 s1, s0
	s_cbranch_execz .LBB0_21
; %bb.20:
	ds_read_b128 v[12:15], v126 offset:3264
	ds_read_b128 v[16:19], v126 offset:7888
	;; [unrolled: 1-line block ×6, first 2 shown]
.LBB0_21:
	s_or_b32 exec_lo, exec_lo, s1
	v_mul_u32_u24_e32 v73, 5, v72
	s_mov_b32 s4, 0xe8584caa
	s_mov_b32 s5, 0xbfebb67a
	;; [unrolled: 1-line block ×4, first 2 shown]
	v_lshlrev_b32_e32 v73, 4, v73
	v_add_co_u32 v73, s1, s8, v73
	v_add_co_ci_u32_e64 v84, null, s9, 0, s1
	v_add_co_u32 v104, s1, 0x1100, v73
	v_add_co_ci_u32_e64 v105, s1, 0, v84, s1
	v_add_co_u32 v92, s1, 0x1000, v73
	v_add_co_ci_u32_e64 v93, s1, 0, v84, s1
	v_add_co_u32 v112, s1, 0x30e0, v73
	s_clause 0x1
	global_load_dwordx4 v[76:79], v[104:105], off offset:32
	global_load_dwordx4 v[80:83], v[92:93], off offset:320
	v_add_co_ci_u32_e64 v113, s1, 0, v84, s1
	v_add_co_u32 v96, s1, 0x3000, v73
	v_add_co_ci_u32_e64 v97, s1, 0, v84, s1
	s_clause 0x7
	global_load_dwordx4 v[84:87], v[112:113], off offset:32
	global_load_dwordx4 v[88:91], v[96:97], off offset:288
	;; [unrolled: 1-line block ×8, first 2 shown]
	s_waitcnt vmcnt(0) lgkmcnt(0)
	s_barrier
	buffer_gl0_inv
	v_mul_f64 v[116:117], v[64:65], v[78:79]
	v_mul_f64 v[118:119], v[68:69], v[82:83]
	;; [unrolled: 1-line block ×10, first 2 shown]
	v_fma_f64 v[66:67], v[66:67], v[76:77], -v[116:117]
	v_fma_f64 v[70:71], v[70:71], v[80:81], -v[118:119]
	v_mul_f64 v[116:117], v[32:33], v[98:99]
	v_fma_f64 v[58:59], v[58:59], v[84:85], -v[120:121]
	v_fma_f64 v[62:63], v[62:63], v[88:89], -v[122:123]
	v_mul_f64 v[118:119], v[50:51], v[102:103]
	v_mul_f64 v[102:103], v[48:49], v[102:103]
	v_mul_f64 v[120:121], v[54:55], v[106:107]
	v_mul_f64 v[106:107], v[52:53], v[106:107]
	v_fma_f64 v[64:65], v[64:65], v[76:77], v[78:79]
	v_fma_f64 v[68:69], v[68:69], v[80:81], v[82:83]
	v_fma_f64 v[42:43], v[42:43], v[92:93], -v[124:125]
	v_mul_f64 v[98:99], v[34:35], v[98:99]
	v_mul_f64 v[78:79], v[38:39], v[110:111]
	;; [unrolled: 1-line block ×5, first 2 shown]
	v_fma_f64 v[56:57], v[56:57], v[84:85], v[86:87]
	v_fma_f64 v[60:61], v[60:61], v[88:89], v[90:91]
	;; [unrolled: 1-line block ×3, first 2 shown]
	v_add_f64 v[76:77], v[66:67], v[70:71]
	v_fma_f64 v[34:35], v[34:35], v[96:97], -v[116:117]
	v_add_f64 v[84:85], v[58:59], v[62:63]
	v_fma_f64 v[48:49], v[48:49], v[100:101], v[118:119]
	v_fma_f64 v[50:51], v[50:51], v[100:101], -v[102:103]
	v_fma_f64 v[52:53], v[52:53], v[104:105], v[120:121]
	v_fma_f64 v[54:55], v[54:55], v[104:105], -v[106:107]
	v_add_f64 v[100:101], v[58:59], -v[62:63]
	v_add_f64 v[86:87], v[64:65], v[68:69]
	v_add_f64 v[88:89], v[64:65], -v[68:69]
	v_fma_f64 v[32:33], v[32:33], v[96:97], v[98:99]
	v_fma_f64 v[36:37], v[36:37], v[108:109], v[78:79]
	v_fma_f64 v[38:39], v[38:39], v[108:109], -v[80:81]
	v_fma_f64 v[44:45], v[44:45], v[112:113], v[82:83]
	v_fma_f64 v[46:47], v[46:47], v[112:113], -v[110:111]
	v_add_f64 v[96:97], v[66:67], -v[70:71]
	v_add_f64 v[78:79], v[56:57], v[60:61]
	v_add_f64 v[80:81], v[56:57], -v[60:61]
	v_fma_f64 v[76:77], v[76:77], -0.5, v[42:43]
	v_add_f64 v[42:43], v[42:43], v[66:67]
	v_fma_f64 v[82:83], v[84:85], -0.5, v[34:35]
	v_add_f64 v[84:85], v[28:29], v[48:49]
	v_add_f64 v[94:95], v[30:31], v[50:51]
	;; [unrolled: 1-line block ×3, first 2 shown]
	v_add_f64 v[92:93], v[50:51], -v[54:55]
	v_add_f64 v[50:51], v[50:51], v[54:55]
	v_fma_f64 v[86:87], v[86:87], -0.5, v[40:41]
	v_add_f64 v[40:41], v[40:41], v[64:65]
	v_add_f64 v[34:35], v[34:35], v[58:59]
	v_add_f64 v[48:49], v[48:49], -v[52:53]
	v_add_f64 v[64:65], v[36:37], v[44:45]
	v_add_f64 v[102:103], v[38:39], -v[46:47]
	v_fma_f64 v[78:79], v[78:79], -0.5, v[32:33]
	v_add_f64 v[32:33], v[32:33], v[56:57]
	v_fma_f64 v[98:99], v[88:89], s[6:7], v[76:77]
	v_fma_f64 v[76:77], v[88:89], s[4:5], v[76:77]
	v_add_f64 v[88:89], v[38:39], v[46:47]
	v_fma_f64 v[66:67], v[80:81], s[6:7], v[82:83]
	v_fma_f64 v[80:81], v[80:81], s[4:5], v[82:83]
	v_add_f64 v[82:83], v[24:25], v[36:37]
	v_add_f64 v[38:39], v[26:27], v[38:39]
	v_fma_f64 v[28:29], v[90:91], -0.5, v[28:29]
	v_fma_f64 v[30:31], v[50:51], -0.5, v[30:31]
	v_fma_f64 v[50:51], v[96:97], s[4:5], v[86:87]
	v_fma_f64 v[56:57], v[96:97], s[6:7], v[86:87]
	v_add_f64 v[52:53], v[84:85], v[52:53]
	v_add_f64 v[36:37], v[36:37], -v[44:45]
	v_add_f64 v[54:55], v[94:95], v[54:55]
	v_fma_f64 v[24:25], v[64:65], -0.5, v[24:25]
	v_add_f64 v[40:41], v[40:41], v[68:69]
	v_add_f64 v[42:43], v[42:43], v[70:71]
	v_fma_f64 v[64:65], v[100:101], s[4:5], v[78:79]
	v_fma_f64 v[78:79], v[100:101], s[6:7], v[78:79]
	v_mul_f64 v[58:59], v[98:99], s[4:5]
	v_mul_f64 v[86:87], v[98:99], 0.5
	v_mul_f64 v[84:85], v[76:77], s[4:5]
	v_mul_f64 v[76:77], v[76:77], -0.5
	v_fma_f64 v[26:27], v[88:89], -0.5, v[26:27]
	v_mul_f64 v[88:89], v[66:67], s[4:5]
	v_mul_f64 v[66:67], v[66:67], 0.5
	v_mul_f64 v[90:91], v[80:81], s[4:5]
	v_mul_f64 v[80:81], v[80:81], -0.5
	v_add_f64 v[44:45], v[82:83], v[44:45]
	v_add_f64 v[46:47], v[38:39], v[46:47]
	;; [unrolled: 1-line block ×4, first 2 shown]
	v_fma_f64 v[62:63], v[92:93], s[4:5], v[28:29]
	v_fma_f64 v[70:71], v[48:49], s[6:7], v[30:31]
	;; [unrolled: 1-line block ×4, first 2 shown]
	v_add_f64 v[28:29], v[54:55], v[42:43]
	v_add_f64 v[30:31], v[52:53], -v[40:41]
	v_add_f64 v[32:33], v[54:55], -v[42:43]
	v_fma_f64 v[58:59], v[50:51], 0.5, v[58:59]
	v_fma_f64 v[86:87], v[50:51], s[6:7], v[86:87]
	v_fma_f64 v[84:85], v[56:57], -0.5, v[84:85]
	v_fma_f64 v[56:57], v[56:57], s[6:7], v[76:77]
	v_fma_f64 v[76:77], v[102:103], s[4:5], v[24:25]
	;; [unrolled: 1-line block ×3, first 2 shown]
	v_fma_f64 v[88:89], v[64:65], 0.5, v[88:89]
	v_fma_f64 v[96:97], v[64:65], s[6:7], v[66:67]
	v_fma_f64 v[24:25], v[102:103], s[6:7], v[24:25]
	;; [unrolled: 1-line block ×3, first 2 shown]
	v_fma_f64 v[90:91], v[78:79], -0.5, v[90:91]
	v_fma_f64 v[78:79], v[78:79], s[6:7], v[80:81]
	v_add_f64 v[26:27], v[52:53], v[40:41]
	v_add_f64 v[34:35], v[44:45], v[38:39]
	;; [unrolled: 1-line block ×3, first 2 shown]
	v_add_f64 v[38:39], v[44:45], -v[38:39]
	v_add_f64 v[40:41], v[46:47], -v[60:61]
	v_add_f64 v[42:43], v[62:63], v[58:59]
	v_add_f64 v[44:45], v[70:71], v[86:87]
	;; [unrolled: 1-line block ×4, first 2 shown]
	v_add_f64 v[50:51], v[62:63], -v[58:59]
	v_add_f64 v[52:53], v[70:71], -v[86:87]
	;; [unrolled: 1-line block ×4, first 2 shown]
	v_add_f64 v[58:59], v[76:77], v[88:89]
	v_add_f64 v[60:61], v[92:93], v[96:97]
	;; [unrolled: 1-line block ×4, first 2 shown]
	v_add_f64 v[66:67], v[76:77], -v[88:89]
	v_add_f64 v[68:69], v[92:93], -v[96:97]
	;; [unrolled: 1-line block ×4, first 2 shown]
	v_mov_b32_e32 v25, 0
	ds_write_b128 v126, v[26:29]
	ds_write_b128 v126, v[30:33] offset:13872
	ds_write_b128 v126, v[34:37] offset:1632
	;; [unrolled: 1-line block ×11, first 2 shown]
	s_and_saveexec_b32 s1, s0
	s_cbranch_execz .LBB0_23
; %bb.22:
	v_add_nc_u32_e32 v24, 0xcc, v72
	v_add_nc_u32_e32 v26, 0xffffffab, v72
	v_cndmask_b32_e64 v24, v26, v24, s0
	v_mul_i32_i24_e32 v24, 5, v24
	v_lshlrev_b64 v[24:25], 4, v[24:25]
	v_add_co_u32 v24, s0, s8, v24
	v_add_co_ci_u32_e64 v25, s0, s9, v25, s0
	v_add_co_u32 v40, s0, 0x1100, v24
	v_add_co_ci_u32_e64 v41, s0, 0, v25, s0
	;; [unrolled: 2-line block ×3, first 2 shown]
	s_clause 0x4
	global_load_dwordx4 v[24:27], v[40:41], off offset:32
	global_load_dwordx4 v[28:31], v[32:33], off offset:320
	;; [unrolled: 1-line block ×5, first 2 shown]
	s_waitcnt vmcnt(4)
	v_mul_f64 v[44:45], v[8:9], v[26:27]
	s_waitcnt vmcnt(3)
	v_mul_f64 v[46:47], v[20:21], v[30:31]
	v_mul_f64 v[26:27], v[10:11], v[26:27]
	;; [unrolled: 1-line block ×3, first 2 shown]
	s_waitcnt vmcnt(2)
	v_mul_f64 v[48:49], v[16:17], v[34:35]
	v_mul_f64 v[34:35], v[18:19], v[34:35]
	v_fma_f64 v[10:11], v[10:11], v[24:25], -v[44:45]
	v_fma_f64 v[22:23], v[22:23], v[28:29], -v[46:47]
	s_waitcnt vmcnt(1)
	v_mul_f64 v[44:45], v[4:5], v[38:39]
	s_waitcnt vmcnt(0)
	v_mul_f64 v[46:47], v[0:1], v[42:43]
	v_fma_f64 v[8:9], v[8:9], v[24:25], v[26:27]
	v_fma_f64 v[20:21], v[20:21], v[28:29], v[30:31]
	v_fma_f64 v[18:19], v[18:19], v[32:33], -v[48:49]
	v_mul_f64 v[26:27], v[6:7], v[38:39]
	v_mul_f64 v[28:29], v[2:3], v[42:43]
	v_fma_f64 v[16:17], v[16:17], v[32:33], v[34:35]
	v_add_f64 v[24:25], v[10:11], v[22:23]
	v_fma_f64 v[6:7], v[6:7], v[36:37], -v[44:45]
	v_fma_f64 v[2:3], v[2:3], v[40:41], -v[46:47]
	v_add_f64 v[30:31], v[8:9], v[20:21]
	v_add_f64 v[32:33], v[8:9], -v[20:21]
	v_fma_f64 v[4:5], v[4:5], v[36:37], v[26:27]
	v_fma_f64 v[0:1], v[0:1], v[40:41], v[28:29]
	v_add_f64 v[28:29], v[10:11], -v[22:23]
	v_add_f64 v[10:11], v[18:19], v[10:11]
	v_add_f64 v[8:9], v[16:17], v[8:9]
	v_fma_f64 v[24:25], v[24:25], -0.5, v[18:19]
	v_add_f64 v[38:39], v[14:15], v[6:7]
	v_add_f64 v[26:27], v[6:7], v[2:3]
	v_add_f64 v[6:7], v[6:7], -v[2:3]
	v_fma_f64 v[30:31], v[30:31], -0.5, v[16:17]
	v_add_f64 v[36:37], v[4:5], -v[0:1]
	v_add_f64 v[10:11], v[10:11], v[22:23]
	v_add_f64 v[8:9], v[8:9], v[20:21]
	v_fma_f64 v[34:35], v[32:33], s[4:5], v[24:25]
	v_fma_f64 v[24:25], v[32:33], s[6:7], v[24:25]
	v_add_f64 v[32:33], v[4:5], v[0:1]
	v_add_f64 v[4:5], v[12:13], v[4:5]
	v_fma_f64 v[14:15], v[26:27], -0.5, v[14:15]
	v_fma_f64 v[16:17], v[28:29], s[6:7], v[30:31]
	v_fma_f64 v[18:19], v[28:29], s[4:5], v[30:31]
	v_mul_f64 v[26:27], v[34:35], -0.5
	v_mul_f64 v[28:29], v[24:25], 0.5
	v_fma_f64 v[12:13], v[32:33], -0.5, v[12:13]
	v_mul_f64 v[24:25], v[24:25], s[4:5]
	v_mul_f64 v[30:31], v[34:35], s[4:5]
	v_add_f64 v[32:33], v[38:39], v[2:3]
	v_add_f64 v[4:5], v[4:5], v[0:1]
	v_fma_f64 v[20:21], v[36:37], s[4:5], v[14:15]
	v_fma_f64 v[22:23], v[36:37], s[6:7], v[14:15]
	v_fma_f64 v[26:27], v[16:17], s[6:7], v[26:27]
	v_fma_f64 v[28:29], v[18:19], s[6:7], v[28:29]
	v_fma_f64 v[34:35], v[6:7], s[6:7], v[12:13]
	v_fma_f64 v[12:13], v[6:7], s[4:5], v[12:13]
	v_fma_f64 v[24:25], v[18:19], 0.5, v[24:25]
	v_fma_f64 v[30:31], v[16:17], -0.5, v[30:31]
	v_add_f64 v[0:1], v[4:5], -v[8:9]
	v_add_f64 v[6:7], v[32:33], v[10:11]
	v_add_f64 v[4:5], v[4:5], v[8:9]
	v_add_f64 v[2:3], v[32:33], -v[10:11]
	v_add_f64 v[10:11], v[20:21], -v[26:27]
	;; [unrolled: 1-line block ×3, first 2 shown]
	v_add_f64 v[18:19], v[20:21], v[26:27]
	v_add_f64 v[22:23], v[22:23], v[28:29]
	;; [unrolled: 1-line block ×4, first 2 shown]
	v_add_f64 v[12:13], v[12:13], -v[24:25]
	v_add_f64 v[8:9], v[34:35], -v[30:31]
	ds_write_b128 v126, v[4:7] offset:3264
	ds_write_b128 v126, v[0:3] offset:17136
	;; [unrolled: 1-line block ×6, first 2 shown]
.LBB0_23:
	s_or_b32 exec_lo, exec_lo, s1
	s_waitcnt lgkmcnt(0)
	s_barrier
	buffer_gl0_inv
	s_and_saveexec_b32 s0, vcc_lo
	s_cbranch_execz .LBB0_25
; %bb.24:
	v_mov_b32_e32 v73, 0
	v_add_co_u32 v30, vcc_lo, s2, v74
	v_lshl_add_u32 v28, v72, 4, 0
	v_add_co_ci_u32_e32 v31, vcc_lo, s3, v75, vcc_lo
	v_lshlrev_b64 v[0:1], 4, v[72:73]
	v_add_nc_u32_e32 v8, 0x66, v72
	v_mov_b32_e32 v9, v73
	v_add_nc_u32_e32 v10, 0xcc, v72
	v_mov_b32_e32 v11, v73
	v_add_nc_u32_e32 v22, 0x132, v72
	v_add_co_u32 v16, vcc_lo, v30, v0
	v_add_co_ci_u32_e32 v17, vcc_lo, v31, v1, vcc_lo
	ds_read_b128 v[0:3], v28
	ds_read_b128 v[4:7], v28 offset:1632
	v_lshlrev_b64 v[18:19], 4, v[8:9]
	v_lshlrev_b64 v[20:21], 4, v[10:11]
	ds_read_b128 v[8:11], v28 offset:3264
	ds_read_b128 v[12:15], v28 offset:4896
	v_mov_b32_e32 v23, v73
	v_add_nc_u32_e32 v24, 0x198, v72
	v_mov_b32_e32 v25, v73
	v_add_co_u32 v18, vcc_lo, v30, v18
	v_lshlrev_b64 v[22:23], 4, v[22:23]
	v_add_co_ci_u32_e32 v19, vcc_lo, v31, v19, vcc_lo
	v_add_co_u32 v20, vcc_lo, v30, v20
	v_add_co_ci_u32_e32 v21, vcc_lo, v31, v21, vcc_lo
	v_add_co_u32 v22, vcc_lo, v30, v22
	v_add_co_ci_u32_e32 v23, vcc_lo, v31, v23, vcc_lo
	s_waitcnt lgkmcnt(3)
	global_store_dwordx4 v[16:17], v[0:3], off
	s_waitcnt lgkmcnt(2)
	global_store_dwordx4 v[18:19], v[4:7], off
	;; [unrolled: 2-line block ×4, first 2 shown]
	v_lshlrev_b64 v[0:1], 4, v[24:25]
	v_add_nc_u32_e32 v8, 0x1fe, v72
	v_mov_b32_e32 v9, v73
	v_add_nc_u32_e32 v10, 0x264, v72
	v_mov_b32_e32 v11, v73
	v_add_nc_u32_e32 v22, 0x2ca, v72
	v_add_co_u32 v16, vcc_lo, v30, v0
	v_add_co_ci_u32_e32 v17, vcc_lo, v31, v1, vcc_lo
	ds_read_b128 v[0:3], v28 offset:6528
	ds_read_b128 v[4:7], v28 offset:8160
	v_lshlrev_b64 v[18:19], 4, v[8:9]
	v_lshlrev_b64 v[20:21], 4, v[10:11]
	ds_read_b128 v[8:11], v28 offset:9792
	ds_read_b128 v[12:15], v28 offset:11424
	v_mov_b32_e32 v23, v73
	v_add_nc_u32_e32 v24, 0x330, v72
	v_add_co_u32 v18, vcc_lo, v30, v18
	v_lshlrev_b64 v[22:23], 4, v[22:23]
	v_add_co_ci_u32_e32 v19, vcc_lo, v31, v19, vcc_lo
	v_add_co_u32 v20, vcc_lo, v30, v20
	v_add_co_ci_u32_e32 v21, vcc_lo, v31, v21, vcc_lo
	v_add_co_u32 v22, vcc_lo, v30, v22
	v_add_co_ci_u32_e32 v23, vcc_lo, v31, v23, vcc_lo
	s_waitcnt lgkmcnt(3)
	global_store_dwordx4 v[16:17], v[0:3], off
	s_waitcnt lgkmcnt(2)
	global_store_dwordx4 v[18:19], v[4:7], off
	;; [unrolled: 2-line block ×4, first 2 shown]
	v_lshlrev_b64 v[0:1], 4, v[24:25]
	v_add_nc_u32_e32 v8, 0x396, v72
	v_mov_b32_e32 v9, v73
	v_add_nc_u32_e32 v10, 0x3fc, v72
	v_mov_b32_e32 v11, v73
	v_add_nc_u32_e32 v22, 0x462, v72
	v_add_co_u32 v16, vcc_lo, v30, v0
	v_add_co_ci_u32_e32 v17, vcc_lo, v31, v1, vcc_lo
	ds_read_b128 v[0:3], v28 offset:13056
	ds_read_b128 v[4:7], v28 offset:14688
	v_lshlrev_b64 v[18:19], 4, v[8:9]
	v_lshlrev_b64 v[20:21], 4, v[10:11]
	ds_read_b128 v[8:11], v28 offset:16320
	ds_read_b128 v[12:15], v28 offset:17952
	v_mov_b32_e32 v23, v73
	v_add_nc_u32_e32 v24, 0x4c8, v72
	v_add_co_u32 v18, vcc_lo, v30, v18
	v_lshlrev_b64 v[22:23], 4, v[22:23]
	v_add_co_ci_u32_e32 v19, vcc_lo, v31, v19, vcc_lo
	v_add_co_u32 v20, vcc_lo, v30, v20
	v_add_co_ci_u32_e32 v21, vcc_lo, v31, v21, vcc_lo
	v_add_co_u32 v22, vcc_lo, v30, v22
	s_waitcnt lgkmcnt(3)
	global_store_dwordx4 v[16:17], v[0:3], off
	s_waitcnt lgkmcnt(2)
	global_store_dwordx4 v[18:19], v[4:7], off
	v_add_nc_u32_e32 v2, 0x52e, v72
	v_mov_b32_e32 v3, v73
	v_add_co_ci_u32_e32 v23, vcc_lo, v31, v23, vcc_lo
	v_lshlrev_b64 v[0:1], 4, v[24:25]
	s_waitcnt lgkmcnt(1)
	global_store_dwordx4 v[20:21], v[8:11], off
	s_waitcnt lgkmcnt(0)
	global_store_dwordx4 v[22:23], v[12:15], off
	v_lshlrev_b64 v[8:9], 4, v[2:3]
	v_add_nc_u32_e32 v10, 0x594, v72
	v_mov_b32_e32 v11, v73
	v_add_co_u32 v20, vcc_lo, v30, v0
	v_add_co_ci_u32_e32 v21, vcc_lo, v31, v1, vcc_lo
	v_add_co_u32 v22, vcc_lo, v30, v8
	ds_read_b128 v[0:3], v28 offset:19584
	ds_read_b128 v[4:7], v28 offset:21216
	v_add_co_ci_u32_e32 v23, vcc_lo, v31, v9, vcc_lo
	v_lshlrev_b64 v[26:27], 4, v[10:11]
	ds_read_b128 v[8:11], v28 offset:22848
	ds_read_b128 v[12:15], v28 offset:24480
	;; [unrolled: 1-line block ×3, first 2 shown]
	v_add_nc_u32_e32 v24, 0x5fa, v72
	v_add_nc_u32_e32 v72, 0x660, v72
	v_add_co_u32 v26, vcc_lo, v30, v26
	v_lshlrev_b64 v[24:25], 4, v[24:25]
	v_lshlrev_b64 v[28:29], 4, v[72:73]
	v_add_co_ci_u32_e32 v27, vcc_lo, v31, v27, vcc_lo
	v_add_co_u32 v24, vcc_lo, v30, v24
	v_add_co_ci_u32_e32 v25, vcc_lo, v31, v25, vcc_lo
	v_add_co_u32 v28, vcc_lo, v30, v28
	v_add_co_ci_u32_e32 v29, vcc_lo, v31, v29, vcc_lo
	s_waitcnt lgkmcnt(4)
	global_store_dwordx4 v[20:21], v[0:3], off
	s_waitcnt lgkmcnt(3)
	global_store_dwordx4 v[22:23], v[4:7], off
	;; [unrolled: 2-line block ×5, first 2 shown]
.LBB0_25:
	s_endpgm
	.section	.rodata,"a",@progbits
	.p2align	6, 0x0
	.amdhsa_kernel fft_rtc_back_len1734_factors_17_17_6_wgs_102_tpt_102_halfLds_dp_ip_CI_unitstride_sbrr_C2R_dirReg
		.amdhsa_group_segment_fixed_size 0
		.amdhsa_private_segment_fixed_size 0
		.amdhsa_kernarg_size 88
		.amdhsa_user_sgpr_count 6
		.amdhsa_user_sgpr_private_segment_buffer 1
		.amdhsa_user_sgpr_dispatch_ptr 0
		.amdhsa_user_sgpr_queue_ptr 0
		.amdhsa_user_sgpr_kernarg_segment_ptr 1
		.amdhsa_user_sgpr_dispatch_id 0
		.amdhsa_user_sgpr_flat_scratch_init 0
		.amdhsa_user_sgpr_private_segment_size 0
		.amdhsa_wavefront_size32 1
		.amdhsa_uses_dynamic_stack 0
		.amdhsa_system_sgpr_private_segment_wavefront_offset 0
		.amdhsa_system_sgpr_workgroup_id_x 1
		.amdhsa_system_sgpr_workgroup_id_y 0
		.amdhsa_system_sgpr_workgroup_id_z 0
		.amdhsa_system_sgpr_workgroup_info 0
		.amdhsa_system_vgpr_workitem_id 0
		.amdhsa_next_free_vgpr 255
		.amdhsa_next_free_sgpr 54
		.amdhsa_reserve_vcc 1
		.amdhsa_reserve_flat_scratch 0
		.amdhsa_float_round_mode_32 0
		.amdhsa_float_round_mode_16_64 0
		.amdhsa_float_denorm_mode_32 3
		.amdhsa_float_denorm_mode_16_64 3
		.amdhsa_dx10_clamp 1
		.amdhsa_ieee_mode 1
		.amdhsa_fp16_overflow 0
		.amdhsa_workgroup_processor_mode 1
		.amdhsa_memory_ordered 1
		.amdhsa_forward_progress 0
		.amdhsa_shared_vgpr_count 0
		.amdhsa_exception_fp_ieee_invalid_op 0
		.amdhsa_exception_fp_denorm_src 0
		.amdhsa_exception_fp_ieee_div_zero 0
		.amdhsa_exception_fp_ieee_overflow 0
		.amdhsa_exception_fp_ieee_underflow 0
		.amdhsa_exception_fp_ieee_inexact 0
		.amdhsa_exception_int_div_zero 0
	.end_amdhsa_kernel
	.text
.Lfunc_end0:
	.size	fft_rtc_back_len1734_factors_17_17_6_wgs_102_tpt_102_halfLds_dp_ip_CI_unitstride_sbrr_C2R_dirReg, .Lfunc_end0-fft_rtc_back_len1734_factors_17_17_6_wgs_102_tpt_102_halfLds_dp_ip_CI_unitstride_sbrr_C2R_dirReg
                                        ; -- End function
	.section	.AMDGPU.csdata,"",@progbits
; Kernel info:
; codeLenInByte = 19804
; NumSgprs: 56
; NumVgprs: 255
; ScratchSize: 0
; MemoryBound: 0
; FloatMode: 240
; IeeeMode: 1
; LDSByteSize: 0 bytes/workgroup (compile time only)
; SGPRBlocks: 6
; VGPRBlocks: 31
; NumSGPRsForWavesPerEU: 56
; NumVGPRsForWavesPerEU: 255
; Occupancy: 4
; WaveLimiterHint : 1
; COMPUTE_PGM_RSRC2:SCRATCH_EN: 0
; COMPUTE_PGM_RSRC2:USER_SGPR: 6
; COMPUTE_PGM_RSRC2:TRAP_HANDLER: 0
; COMPUTE_PGM_RSRC2:TGID_X_EN: 1
; COMPUTE_PGM_RSRC2:TGID_Y_EN: 0
; COMPUTE_PGM_RSRC2:TGID_Z_EN: 0
; COMPUTE_PGM_RSRC2:TIDIG_COMP_CNT: 0
	.text
	.p2alignl 6, 3214868480
	.fill 48, 4, 3214868480
	.type	__hip_cuid_24fa03ac8904c9,@object ; @__hip_cuid_24fa03ac8904c9
	.section	.bss,"aw",@nobits
	.globl	__hip_cuid_24fa03ac8904c9
__hip_cuid_24fa03ac8904c9:
	.byte	0                               ; 0x0
	.size	__hip_cuid_24fa03ac8904c9, 1

	.ident	"AMD clang version 19.0.0git (https://github.com/RadeonOpenCompute/llvm-project roc-6.4.0 25133 c7fe45cf4b819c5991fe208aaa96edf142730f1d)"
	.section	".note.GNU-stack","",@progbits
	.addrsig
	.addrsig_sym __hip_cuid_24fa03ac8904c9
	.amdgpu_metadata
---
amdhsa.kernels:
  - .args:
      - .actual_access:  read_only
        .address_space:  global
        .offset:         0
        .size:           8
        .value_kind:     global_buffer
      - .offset:         8
        .size:           8
        .value_kind:     by_value
      - .actual_access:  read_only
        .address_space:  global
        .offset:         16
        .size:           8
        .value_kind:     global_buffer
      - .actual_access:  read_only
        .address_space:  global
        .offset:         24
        .size:           8
        .value_kind:     global_buffer
      - .offset:         32
        .size:           8
        .value_kind:     by_value
      - .actual_access:  read_only
        .address_space:  global
        .offset:         40
        .size:           8
        .value_kind:     global_buffer
      - .actual_access:  read_only
        .address_space:  global
        .offset:         48
        .size:           8
        .value_kind:     global_buffer
      - .offset:         56
        .size:           4
        .value_kind:     by_value
      - .actual_access:  read_only
        .address_space:  global
        .offset:         64
        .size:           8
        .value_kind:     global_buffer
      - .actual_access:  read_only
        .address_space:  global
        .offset:         72
        .size:           8
        .value_kind:     global_buffer
      - .address_space:  global
        .offset:         80
        .size:           8
        .value_kind:     global_buffer
    .group_segment_fixed_size: 0
    .kernarg_segment_align: 8
    .kernarg_segment_size: 88
    .language:       OpenCL C
    .language_version:
      - 2
      - 0
    .max_flat_workgroup_size: 102
    .name:           fft_rtc_back_len1734_factors_17_17_6_wgs_102_tpt_102_halfLds_dp_ip_CI_unitstride_sbrr_C2R_dirReg
    .private_segment_fixed_size: 0
    .sgpr_count:     56
    .sgpr_spill_count: 0
    .symbol:         fft_rtc_back_len1734_factors_17_17_6_wgs_102_tpt_102_halfLds_dp_ip_CI_unitstride_sbrr_C2R_dirReg.kd
    .uniform_work_group_size: 1
    .uses_dynamic_stack: false
    .vgpr_count:     255
    .vgpr_spill_count: 0
    .wavefront_size: 32
    .workgroup_processor_mode: 1
amdhsa.target:   amdgcn-amd-amdhsa--gfx1030
amdhsa.version:
  - 1
  - 2
...

	.end_amdgpu_metadata
